;; amdgpu-corpus repo=zjin-lcf/HeCBench kind=compiled arch=gfx906 opt=O3
	.amdgcn_target "amdgcn-amd-amdhsa--gfx906"
	.amdhsa_code_object_version 6
	.text
	.protected	_Z8fill_sigPdS_S_PKdS1_i ; -- Begin function _Z8fill_sigPdS_S_PKdS1_i
	.globl	_Z8fill_sigPdS_S_PKdS1_i
	.p2align	8
	.type	_Z8fill_sigPdS_S_PKdS1_i,@function
_Z8fill_sigPdS_S_PKdS1_i:               ; @_Z8fill_sigPdS_S_PKdS1_i
; %bb.0:
	s_load_dword s0, s[4:5], 0x3c
	s_load_dword s1, s[4:5], 0x28
	s_waitcnt lgkmcnt(0)
	s_and_b32 s0, s0, 0xffff
	s_mul_i32 s6, s6, s0
	v_add_u32_e32 v0, s6, v0
	v_cmp_gt_i32_e32 vcc, s1, v0
	s_and_saveexec_b64 s[0:1], vcc
	s_cbranch_execz .LBB0_2
; %bb.1:
	s_load_dwordx8 s[8:15], s[4:5], 0x0
	s_load_dwordx2 s[0:1], s[4:5], 0x20
	v_ashrrev_i32_e32 v1, 31, v0
	v_lshlrev_b64 v[0:1], 3, v[0:1]
	s_waitcnt lgkmcnt(0)
	v_mov_b32_e32 v3, s15
	v_add_co_u32_e32 v2, vcc, s14, v0
	v_addc_co_u32_e32 v3, vcc, v3, v1, vcc
	v_mov_b32_e32 v5, s1
	v_add_co_u32_e32 v4, vcc, s0, v0
	v_addc_co_u32_e32 v5, vcc, v5, v1, vcc
	global_load_dwordx2 v[2:3], v[2:3], off
	v_mov_b32_e32 v7, s13
	global_load_dwordx2 v[4:5], v[4:5], off
	v_add_co_u32_e32 v6, vcc, s12, v0
	v_addc_co_u32_e32 v7, vcc, v7, v1, vcc
	v_mov_b32_e32 v8, s11
	v_mov_b32_e32 v9, s9
	s_waitcnt vmcnt(0)
	v_add_f64 v[2:3], -v[2:3], -v[4:5]
	v_add_co_u32_e32 v4, vcc, s10, v0
	v_addc_co_u32_e32 v5, vcc, v8, v1, vcc
	v_add_co_u32_e32 v0, vcc, s8, v0
	v_addc_co_u32_e32 v1, vcc, v9, v1, vcc
	global_store_dwordx2 v[6:7], v[2:3], off
	global_store_dwordx2 v[4:5], v[2:3], off
	global_store_dwordx2 v[0:1], v[2:3], off
.LBB0_2:
	s_endpgm
	.section	.rodata,"a",@progbits
	.p2align	6, 0x0
	.amdhsa_kernel _Z8fill_sigPdS_S_PKdS1_i
		.amdhsa_group_segment_fixed_size 0
		.amdhsa_private_segment_fixed_size 0
		.amdhsa_kernarg_size 304
		.amdhsa_user_sgpr_count 6
		.amdhsa_user_sgpr_private_segment_buffer 1
		.amdhsa_user_sgpr_dispatch_ptr 0
		.amdhsa_user_sgpr_queue_ptr 0
		.amdhsa_user_sgpr_kernarg_segment_ptr 1
		.amdhsa_user_sgpr_dispatch_id 0
		.amdhsa_user_sgpr_flat_scratch_init 0
		.amdhsa_user_sgpr_private_segment_size 0
		.amdhsa_uses_dynamic_stack 0
		.amdhsa_system_sgpr_private_segment_wavefront_offset 0
		.amdhsa_system_sgpr_workgroup_id_x 1
		.amdhsa_system_sgpr_workgroup_id_y 0
		.amdhsa_system_sgpr_workgroup_id_z 0
		.amdhsa_system_sgpr_workgroup_info 0
		.amdhsa_system_vgpr_workitem_id 0
		.amdhsa_next_free_vgpr 10
		.amdhsa_next_free_sgpr 16
		.amdhsa_reserve_vcc 1
		.amdhsa_reserve_flat_scratch 0
		.amdhsa_float_round_mode_32 0
		.amdhsa_float_round_mode_16_64 0
		.amdhsa_float_denorm_mode_32 3
		.amdhsa_float_denorm_mode_16_64 3
		.amdhsa_dx10_clamp 1
		.amdhsa_ieee_mode 1
		.amdhsa_fp16_overflow 0
		.amdhsa_exception_fp_ieee_invalid_op 0
		.amdhsa_exception_fp_denorm_src 0
		.amdhsa_exception_fp_ieee_div_zero 0
		.amdhsa_exception_fp_ieee_overflow 0
		.amdhsa_exception_fp_ieee_underflow 0
		.amdhsa_exception_fp_ieee_inexact 0
		.amdhsa_exception_int_div_zero 0
	.end_amdhsa_kernel
	.text
.Lfunc_end0:
	.size	_Z8fill_sigPdS_S_PKdS1_i, .Lfunc_end0-_Z8fill_sigPdS_S_PKdS1_i
                                        ; -- End function
	.set _Z8fill_sigPdS_S_PKdS1_i.num_vgpr, 10
	.set _Z8fill_sigPdS_S_PKdS1_i.num_agpr, 0
	.set _Z8fill_sigPdS_S_PKdS1_i.numbered_sgpr, 16
	.set _Z8fill_sigPdS_S_PKdS1_i.num_named_barrier, 0
	.set _Z8fill_sigPdS_S_PKdS1_i.private_seg_size, 0
	.set _Z8fill_sigPdS_S_PKdS1_i.uses_vcc, 1
	.set _Z8fill_sigPdS_S_PKdS1_i.uses_flat_scratch, 0
	.set _Z8fill_sigPdS_S_PKdS1_i.has_dyn_sized_stack, 0
	.set _Z8fill_sigPdS_S_PKdS1_i.has_recursion, 0
	.set _Z8fill_sigPdS_S_PKdS1_i.has_indirect_call, 0
	.section	.AMDGPU.csdata,"",@progbits
; Kernel info:
; codeLenInByte = 196
; TotalNumSgprs: 20
; NumVgprs: 10
; ScratchSize: 0
; MemoryBound: 0
; FloatMode: 240
; IeeeMode: 1
; LDSByteSize: 0 bytes/workgroup (compile time only)
; SGPRBlocks: 2
; VGPRBlocks: 2
; NumSGPRsForWavesPerEU: 20
; NumVGPRsForWavesPerEU: 10
; Occupancy: 10
; WaveLimiterHint : 0
; COMPUTE_PGM_RSRC2:SCRATCH_EN: 0
; COMPUTE_PGM_RSRC2:USER_SGPR: 6
; COMPUTE_PGM_RSRC2:TRAP_HANDLER: 0
; COMPUTE_PGM_RSRC2:TGID_X_EN: 1
; COMPUTE_PGM_RSRC2:TGID_Y_EN: 0
; COMPUTE_PGM_RSRC2:TGID_Z_EN: 0
; COMPUTE_PGM_RSRC2:TIDIG_COMP_CNT: 0
	.text
	.protected	_Z15integrateStressPdS_S_PKdS1_S1_PKiS1_S1_S1_S_i ; -- Begin function _Z15integrateStressPdS_S_PKdS1_S1_PKiS1_S1_S1_S_i
	.globl	_Z15integrateStressPdS_S_PKdS1_S1_PKiS1_S1_S1_S_i
	.p2align	8
	.type	_Z15integrateStressPdS_S_PKdS1_S1_PKiS1_S1_S1_S_i,@function
_Z15integrateStressPdS_S_PKdS1_S1_PKiS1_S1_S1_S_i: ; @_Z15integrateStressPdS_S_PKdS1_S1_PKiS1_S1_S1_S_i
; %bb.0:
	s_mov_b64 s[26:27], s[2:3]
	s_mov_b64 s[24:25], s[0:1]
	s_load_dword s0, s[4:5], 0x6c
	s_load_dword s1, s[4:5], 0x58
	s_add_u32 s24, s24, s7
	s_addc_u32 s25, s25, 0
	s_waitcnt lgkmcnt(0)
	s_and_b32 s0, s0, 0xffff
	s_mul_i32 s6, s6, s0
	v_add_u32_e32 v0, s6, v0
	v_cmp_gt_i32_e32 vcc, s1, v0
	s_and_saveexec_b64 s[0:1], vcc
	s_cbranch_execz .LBB1_2
; %bb.1:
	buffer_store_dword v0, off, s[24:27], 0 offset:40 ; 4-byte Folded Spill
	s_nop 0
	buffer_store_dword v1, off, s[24:27], 0 offset:44 ; 4-byte Folded Spill
	s_load_dwordx8 s[16:23], s[4:5], 0x20
	s_load_dwordx8 s[8:15], s[4:5], 0x0
	s_waitcnt lgkmcnt(0)
	v_mov_b32_e32 v2, s21
	v_mov_b32_e32 v10, s19
	;; [unrolled: 1-line block ×11, first 2 shown]
	v_lshlrev_b32_e32 v0, 3, v0
	v_ashrrev_i32_e32 v1, 31, v0
	buffer_store_dword v0, off, s[24:27], 0 offset:32 ; 4-byte Folded Spill
	s_nop 0
	buffer_store_dword v1, off, s[24:27], 0 offset:36 ; 4-byte Folded Spill
	v_lshlrev_b64 v[0:1], 2, v[0:1]
	v_add_co_u32_e32 v8, vcc, s20, v0
	v_addc_co_u32_e32 v9, vcc, v2, v1, vcc
	global_load_dwordx4 v[4:7], v[8:9], off
	global_load_dwordx4 v[0:3], v[8:9], off offset:16
	v_mov_b32_e32 v8, s15
	v_mov_b32_e32 v9, s17
	s_waitcnt vmcnt(1)
	v_ashrrev_i32_e32 v15, 31, v4
	v_mov_b32_e32 v14, v4
	v_ashrrev_i32_e32 v17, 31, v5
	v_mov_b32_e32 v16, v5
	;; [unrolled: 2-line block ×4, first 2 shown]
	s_waitcnt vmcnt(0)
	v_ashrrev_i32_e32 v7, 31, v0
	v_mov_b32_e32 v6, v0
	v_ashrrev_i32_e32 v21, 31, v1
	v_mov_b32_e32 v20, v1
	;; [unrolled: 2-line block ×4, first 2 shown]
	v_lshlrev_b64 v[2:3], 3, v[14:15]
	v_lshlrev_b64 v[36:37], 3, v[6:7]
	v_add_co_u32_e32 v6, vcc, s14, v2
	v_addc_co_u32_e32 v7, vcc, v8, v3, vcc
	v_lshlrev_b64 v[34:35], 3, v[16:17]
	v_add_co_u32_e32 v16, vcc, s16, v2
	v_addc_co_u32_e32 v17, vcc, v9, v3, vcc
	v_add_co_u32_e32 v27, vcc, s18, v2
	v_addc_co_u32_e32 v28, vcc, v10, v3, vcc
	v_lshlrev_b64 v[14:15], 3, v[18:19]
	v_add_co_u32_e32 v18, vcc, s14, v34
	v_addc_co_u32_e32 v19, vcc, v11, v35, vcc
	v_lshlrev_b64 v[4:5], 3, v[4:5]
	v_add_co_u32_e32 v29, vcc, s16, v34
	v_addc_co_u32_e32 v30, vcc, v12, v35, vcc
	v_add_co_u32_e32 v31, vcc, s16, v4
	v_addc_co_u32_e32 v32, vcc, v13, v5, vcc
	;; [unrolled: 2-line block ×3, first 2 shown]
	v_lshlrev_b64 v[24:25], 3, v[20:21]
	v_add_co_u32_e32 v20, vcc, s16, v14
	v_addc_co_u32_e32 v21, vcc, v38, v15, vcc
	v_add_co_u32_e32 v14, vcc, s18, v14
	v_addc_co_u32_e32 v15, vcc, v39, v15, vcc
	;; [unrolled: 2-line block ×4, first 2 shown]
	global_load_dwordx2 v[40:41], v[2:3], off
	v_lshlrev_b64 v[0:1], 3, v[0:1]
	v_mov_b32_e32 v9, s15
	v_add_co_u32_e32 v8, vcc, s14, v0
	v_addc_co_u32_e32 v9, vcc, v9, v1, vcc
	v_lshlrev_b64 v[45:46], 3, v[22:23]
	v_mov_b32_e32 v13, s15
	v_mov_b32_e32 v2, s17
	s_waitcnt vmcnt(0)
	buffer_store_dword v40, off, s[24:27], 0 offset:8 ; 4-byte Folded Spill
	s_nop 0
	buffer_store_dword v41, off, s[24:27], 0 offset:12 ; 4-byte Folded Spill
	global_load_dwordx2 v[22:23], v[8:9], off
	s_waitcnt vmcnt(0)
	buffer_store_dword v22, off, s[24:27], 0 offset:136 ; 4-byte Folded Spill
	s_nop 0
	buffer_store_dword v23, off, s[24:27], 0 offset:140 ; 4-byte Folded Spill
	global_load_dwordx2 v[54:55], v[6:7], off
	v_add_co_u32_e32 v6, vcc, s14, v45
	v_addc_co_u32_e32 v7, vcc, v13, v46, vcc
	s_waitcnt vmcnt(0)
	buffer_store_dword v54, off, s[24:27], 0 offset:160 ; 4-byte Folded Spill
	s_nop 0
	buffer_store_dword v55, off, s[24:27], 0 offset:164 ; 4-byte Folded Spill
	global_load_dwordx2 v[58:59], v[10:11], off
	s_waitcnt vmcnt(0)
	buffer_store_dword v58, off, s[24:27], 0 offset:24 ; 4-byte Folded Spill
	s_nop 0
	buffer_store_dword v59, off, s[24:27], 0 offset:28 ; 4-byte Folded Spill
	global_load_dwordx2 v[60:61], v[18:19], off
	global_load_dwordx2 v[8:9], v[6:7], off
	v_add_co_u32_e32 v18, vcc, s16, v0
	v_addc_co_u32_e32 v19, vcc, v12, v1, vcc
	v_add_co_u32_e32 v47, vcc, s16, v45
	v_addc_co_u32_e32 v48, vcc, v2, v46, vcc
	v_add_f64 v[22:23], v[22:23], -v[54:55]
	s_waitcnt vmcnt(0)
	buffer_store_dword v8, off, s[24:27], 0 offset:120 ; 4-byte Folded Spill
	s_nop 0
	buffer_store_dword v9, off, s[24:27], 0 offset:124 ; 4-byte Folded Spill
	global_load_dwordx2 v[62:63], v[16:17], off
	s_waitcnt vmcnt(0)
	buffer_store_dword v62, off, s[24:27], 0 offset:168 ; 4-byte Folded Spill
	s_nop 0
	buffer_store_dword v63, off, s[24:27], 0 offset:172 ; 4-byte Folded Spill
	global_load_dwordx2 v[56:57], v[20:21], off
	s_nop 0
	global_load_dwordx2 v[20:21], v[18:19], off
	s_waitcnt vmcnt(0)
	buffer_store_dword v20, off, s[24:27], 0 offset:144 ; 4-byte Folded Spill
	s_nop 0
	buffer_store_dword v21, off, s[24:27], 0 offset:148 ; 4-byte Folded Spill
	global_load_dwordx2 v[42:43], v[47:48], off
	s_waitcnt vmcnt(0)
	buffer_store_dword v42, off, s[24:27], 0 offset:112 ; 4-byte Folded Spill
	s_nop 0
	buffer_store_dword v43, off, s[24:27], 0 offset:116 ; 4-byte Folded Spill
	global_load_dwordx2 v[18:19], v[38:39], off
	v_add_co_u32_e32 v38, vcc, s16, v36
	v_addc_co_u32_e32 v39, vcc, v2, v37, vcc
	v_mov_b32_e32 v2, s19
	v_add_co_u32_e32 v50, vcc, s18, v24
	v_addc_co_u32_e32 v51, vcc, v2, v25, vcc
	v_add_co_u32_e32 v52, vcc, s18, v0
	v_addc_co_u32_e32 v53, vcc, v2, v1, vcc
	v_mov_b32_e32 v0, s19
	s_waitcnt vmcnt(0)
	buffer_store_dword v18, off, s[24:27], 0 offset:16 ; 4-byte Folded Spill
	s_nop 0
	buffer_store_dword v19, off, s[24:27], 0 offset:20 ; 4-byte Folded Spill
	global_load_dwordx2 v[48:49], v[29:30], off
	s_nop 0
	global_load_dwordx2 v[29:30], v[31:32], off
	global_load_dwordx2 v[24:25], v[38:39], off
	v_add_co_u32_e32 v32, vcc, s18, v45
	v_addc_co_u32_e32 v33, vcc, v0, v46, vcc
	v_add_co_u32_e32 v34, vcc, s18, v34
	v_addc_co_u32_e32 v35, vcc, v26, v35, vcc
	v_add_co_u32_e32 v26, vcc, s18, v4
	s_waitcnt vmcnt(0)
	buffer_store_dword v24, off, s[24:27], 0 ; 4-byte Folded Spill
	s_nop 0
	buffer_store_dword v25, off, s[24:27], 0 offset:4 ; 4-byte Folded Spill
	global_load_dwordx2 v[12:13], v[27:28], off
	global_load_dwordx2 v[0:1], v[14:15], off
	s_waitcnt vmcnt(0)
	buffer_store_dword v0, off, s[24:27], 0 offset:184 ; 4-byte Folded Spill
	s_nop 0
	buffer_store_dword v1, off, s[24:27], 0 offset:188 ; 4-byte Folded Spill
	global_load_dwordx2 v[6:7], v[52:53], off
	v_mov_b32_e32 v1, s19
	v_addc_co_u32_e32 v27, vcc, v1, v5, vcc
	v_add_co_u32_e32 v45, vcc, s18, v36
	v_addc_co_u32_e32 v46, vcc, v1, v37, vcc
	v_mov_b32_e32 v0, s15
	v_add_co_u32_e32 v4, vcc, s14, v4
	v_addc_co_u32_e32 v5, vcc, v0, v5, vcc
	v_add_co_u32_e32 v36, vcc, s14, v36
	v_addc_co_u32_e32 v37, vcc, v0, v37, vcc
	v_add_f64 v[52:53], v[8:9], -v[60:61]
	s_waitcnt vmcnt(0)
	buffer_store_dword v6, off, s[24:27], 0 offset:176 ; 4-byte Folded Spill
	s_nop 0
	buffer_store_dword v7, off, s[24:27], 0 offset:180 ; 4-byte Folded Spill
	global_load_dwordx2 v[10:11], v[32:33], off
	s_waitcnt vmcnt(0)
	buffer_store_dword v10, off, s[24:27], 0 offset:128 ; 4-byte Folded Spill
	s_nop 0
	buffer_store_dword v11, off, s[24:27], 0 offset:132 ; 4-byte Folded Spill
	global_load_dwordx2 v[32:33], v[50:51], off
	s_nop 0
	global_load_dwordx2 v[34:35], v[34:35], off
	s_nop 0
	global_load_dwordx2 v[50:51], v[26:27], off
	global_load_dwordx2 v[16:17], v[45:46], off
	v_add_f64 v[26:27], v[40:41], -v[58:59]
	v_add_f64 v[40:41], v[20:21], -v[62:63]
	;; [unrolled: 1-line block ×4, first 2 shown]
	v_mov_b32_e32 v43, v30
	global_load_dwordx2 v[38:39], v[4:5], off
	global_load_dwordx2 v[46:47], v[36:37], off
	v_mov_b32_e32 v42, v29
	buffer_load_dword v28, off, s[24:27], 0 offset:184 ; 4-byte Folded Reload
	buffer_load_dword v29, off, s[24:27], 0 offset:188 ; 4-byte Folded Reload
	v_add_f64 v[14:15], v[24:25], -v[42:43]
	v_add_f64 v[24:25], v[6:7], -v[12:13]
	v_add_f64 v[2:3], v[62:63], v[40:41]
	v_mov_b32_e32 v37, v13
	v_mov_b32_e32 v36, v12
	v_add_f64 v[54:55], v[26:27], v[22:23]
	v_mov_b32_e32 v44, v56
	v_mov_b32_e32 v45, v57
	s_load_dwordx2 s[6:7], s[4:5], 0x50
	s_load_dwordx4 s[0:3], s[4:5], 0x40
	v_add_f64 v[0:1], v[2:3], -v[18:19]
	v_add_f64 v[8:9], v[2:3], v[18:19]
	v_add_f64 v[58:59], v[54:55], -v[52:53]
	v_add_f64 v[54:55], v[54:55], v[52:53]
	;; [unrolled: 2-line block ×3, first 2 shown]
	v_ldexp_f64 v[2:3], v[2:3], -3
	v_ldexp_f64 v[8:9], v[8:9], -3
	s_waitcnt vmcnt(7)
	v_mov_b32_e32 v57, v33
	v_mov_b32_e32 v56, v32
	s_waitcnt vmcnt(6)
	v_add_f64 v[12:13], v[10:11], -v[34:35]
	s_waitcnt vmcnt(4)
	v_add_f64 v[10:11], v[16:17], -v[50:51]
	;; [unrolled: 2-line block ×4, first 2 shown]
	v_add_f64 v[54:55], v[6:7], v[54:55]
	v_add_f64 v[58:59], v[58:59], -v[6:7]
	v_add_f64 v[4:5], v[20:21], v[24:25]
	v_ldexp_f64 v[54:55], v[54:55], -3
	v_ldexp_f64 v[58:59], v[58:59], -3
	v_add_f64 v[0:1], v[4:5], -v[12:13]
	v_add_f64 v[4:5], v[4:5], v[12:13]
	v_add_f64 v[0:1], v[0:1], -v[10:11]
	v_add_f64 v[4:5], v[10:11], v[4:5]
	v_ldexp_f64 v[0:1], v[0:1], -3
	v_ldexp_f64 v[4:5], v[4:5], -3
	v_mul_f64 v[32:33], v[2:3], v[4:5]
	v_fma_f64 v[32:33], v[8:9], v[0:1], -v[32:33]
	v_mul_f64 v[0:1], v[54:55], v[0:1]
	v_fma_f64 v[0:1], v[58:59], v[4:5], -v[0:1]
	v_mul_f64 v[4:5], v[58:59], v[8:9]
	v_add_f64 v[8:9], v[22:23], -v[26:27]
	v_mov_b32_e32 v59, v29
	v_mov_b32_e32 v58, v28
	v_fma_f64 v[2:3], v[54:55], v[2:3], -v[4:5]
	v_add_f64 v[4:5], v[40:41], -v[62:63]
	v_add_f64 v[8:9], v[8:9], v[52:53]
	v_mov_b32_e32 v53, v37
	v_mov_b32_e32 v52, v36
	v_add_f64 v[4:5], v[4:5], v[18:19]
	v_add_f64 v[6:7], v[8:9], -v[6:7]
	v_add_f64 v[4:5], v[4:5], -v[14:15]
	v_ldexp_f64 v[4:5], v[4:5], -3
	v_mul_f64 v[0:1], v[4:5], v[0:1]
	v_ldexp_f64 v[4:5], v[6:7], -3
	v_fma_f64 v[0:1], v[4:5], v[32:33], v[0:1]
	v_add_f64 v[4:5], v[24:25], -v[20:21]
	v_mov_b32_e32 v32, v42
	v_mov_b32_e32 v33, v43
	v_add_f64 v[8:9], v[48:49], v[32:33]
	v_add_f64 v[6:7], v[32:33], v[44:45]
	v_mov_b32_e32 v30, v32
	v_mov_b32_e32 v31, v33
	v_add_f64 v[4:5], v[4:5], v[12:13]
	v_add_f64 v[8:9], v[8:9], -v[44:45]
	v_add_f64 v[6:7], v[6:7], -v[48:49]
	;; [unrolled: 1-line block ×3, first 2 shown]
	v_add_f64 v[10:11], v[34:35], v[50:51]
	v_ldexp_f64 v[4:5], v[4:5], -3
	v_add_f64 v[10:11], v[10:11], -v[58:59]
	v_fma_f64 v[0:1], v[2:3], v[4:5], v[0:1]
	buffer_load_dword v2, off, s[24:27], 0 offset:40 ; 4-byte Folded Reload
	buffer_load_dword v3, off, s[24:27], 0 offset:44 ; 4-byte Folded Reload
	;; [unrolled: 1-line block ×4, first 2 shown]
	v_add_f64 v[10:11], v[10:11], -v[36:37]
	v_ldexp_f64 v[0:1], v[0:1], 3
	v_mul_f64 v[10:11], v[10:11], 0.5
	s_waitcnt vmcnt(2)
	v_ashrrev_i32_e32 v3, 31, v2
	v_lshlrev_b64 v[54:55], 3, v[2:3]
	s_waitcnt lgkmcnt(0)
	v_mov_b32_e32 v3, s7
	v_add_co_u32_e32 v2, vcc, s6, v54
	v_addc_co_u32_e32 v3, vcc, v3, v55, vcc
	global_store_dwordx2 v[2:3], v[0:1], off
	buffer_load_dword v22, off, s[24:27], 0 offset:168 ; 4-byte Folded Reload
	buffer_load_dword v23, off, s[24:27], 0 offset:172 ; 4-byte Folded Reload
	;; [unrolled: 1-line block ×4, first 2 shown]
	v_add_f64 v[0:1], v[50:51], v[58:59]
	s_waitcnt vmcnt(5)
	v_add_f64 v[4:5], v[38:39], v[18:19]
	v_add_f64 v[2:3], v[60:61], v[38:39]
	v_add_f64 v[0:1], v[0:1], -v[34:35]
	v_add_f64 v[4:5], v[4:5], -v[60:61]
	;; [unrolled: 1-line block ×4, first 2 shown]
	v_mul_f64 v[0:1], v[0:1], 0.5
	s_waitcnt vmcnt(2)
	v_add_f64 v[8:9], v[8:9], -v[22:23]
	s_waitcnt vmcnt(0)
	v_add_f64 v[4:5], v[4:5], -v[24:25]
	v_add_f64 v[6:7], v[6:7], -v[22:23]
	;; [unrolled: 1-line block ×3, first 2 shown]
	v_mul_f64 v[8:9], v[8:9], 0.5
	v_mul_f64 v[4:5], v[4:5], 0.5
	;; [unrolled: 1-line block ×4, first 2 shown]
	v_mul_f64 v[12:13], v[8:9], v[0:1]
	v_fma_f64 v[12:13], v[6:7], v[10:11], -v[12:13]
	v_mul_f64 v[10:11], v[4:5], v[10:11]
	buffer_store_dword v12, off, s[24:27], 0 offset:64 ; 4-byte Folded Spill
	s_nop 0
	buffer_store_dword v13, off, s[24:27], 0 offset:68 ; 4-byte Folded Spill
	v_fma_f64 v[0:1], v[2:3], v[0:1], -v[10:11]
	buffer_store_dword v0, off, s[24:27], 0 offset:48 ; 4-byte Folded Spill
	s_nop 0
	buffer_store_dword v1, off, s[24:27], 0 offset:52 ; 4-byte Folded Spill
	v_mul_f64 v[0:1], v[2:3], v[6:7]
	v_add_f64 v[2:3], v[34:35], v[56:57]
	v_fma_f64 v[0:1], v[4:5], v[8:9], -v[0:1]
	buffer_store_dword v0, off, s[24:27], 0 offset:40 ; 4-byte Folded Spill
	s_nop 0
	buffer_store_dword v1, off, s[24:27], 0 offset:44 ; 4-byte Folded Spill
	buffer_load_dword v42, off, s[24:27], 0 offset:8 ; 4-byte Folded Reload
	buffer_load_dword v43, off, s[24:27], 0 offset:12 ; 4-byte Folded Reload
	s_nop 0
	buffer_store_dword v46, off, s[24:27], 0 offset:152 ; 4-byte Folded Spill
	s_nop 0
	buffer_store_dword v47, off, s[24:27], 0 offset:156 ; 4-byte Folded Spill
	buffer_store_dword v16, off, s[24:27], 0 offset:88 ; 4-byte Folded Spill
	s_nop 0
	buffer_store_dword v17, off, s[24:27], 0 offset:92 ; 4-byte Folded Spill
	buffer_load_dword v28, off, s[24:27], 0 offset:16 ; 4-byte Folded Reload
	buffer_load_dword v29, off, s[24:27], 0 offset:20 ; 4-byte Folded Reload
	buffer_load_dword v8, off, s[24:27], 0  ; 4-byte Folded Reload
	buffer_load_dword v9, off, s[24:27], 0 offset:4 ; 4-byte Folded Reload
	s_waitcnt vmcnt(8)
	v_add_f64 v[0:1], v[60:61], v[42:43]
	v_add_f64 v[2:3], v[2:3], -v[16:17]
	v_add_f64 v[10:11], v[16:17], v[56:57]
	s_waitcnt vmcnt(2)
	v_add_f64 v[4:5], v[48:49], v[28:29]
	v_add_f64 v[6:7], v[46:47], v[42:43]
	v_add_f64 v[0:1], v[0:1], -v[46:47]
	v_add_f64 v[2:3], v[2:3], -v[52:53]
	;; [unrolled: 1-line block ×3, first 2 shown]
	s_waitcnt vmcnt(0)
	v_add_f64 v[4:5], v[4:5], -v[8:9]
	v_add_f64 v[8:9], v[8:9], v[28:29]
	v_add_f64 v[6:7], v[6:7], -v[60:61]
	v_add_f64 v[0:1], v[0:1], -v[24:25]
	v_mul_f64 v[2:3], v[2:3], 0.5
	v_add_f64 v[10:11], v[10:11], -v[52:53]
	v_add_f64 v[4:5], v[4:5], -v[22:23]
	;; [unrolled: 1-line block ×4, first 2 shown]
	v_mul_f64 v[0:1], v[0:1], 0.5
	v_mul_f64 v[10:11], v[10:11], 0.5
	;; [unrolled: 1-line block ×3, first 2 shown]
	v_add_f64 v[8:9], v[8:9], -v[22:23]
	v_mul_f64 v[6:7], v[6:7], 0.5
	v_mul_f64 v[8:9], v[8:9], 0.5
	v_mul_f64 v[12:13], v[8:9], v[2:3]
	v_fma_f64 v[12:13], v[4:5], v[10:11], -v[12:13]
	v_mul_f64 v[10:11], v[0:1], v[10:11]
	buffer_store_dword v12, off, s[24:27], 0 offset:80 ; 4-byte Folded Spill
	s_nop 0
	buffer_store_dword v13, off, s[24:27], 0 offset:84 ; 4-byte Folded Spill
	v_fma_f64 v[2:3], v[6:7], v[2:3], -v[10:11]
	buffer_store_dword v2, off, s[24:27], 0 offset:72 ; 4-byte Folded Spill
	s_nop 0
	buffer_store_dword v3, off, s[24:27], 0 offset:76 ; 4-byte Folded Spill
	v_mul_f64 v[2:3], v[6:7], v[4:5]
	v_mov_b32_e32 v10, v32
	v_mov_b32_e32 v11, v33
	v_fma_f64 v[0:1], v[0:1], v[8:9], -v[2:3]
	buffer_store_dword v0, off, s[24:27], 0 offset:56 ; 4-byte Folded Spill
	s_nop 0
	buffer_store_dword v1, off, s[24:27], 0 offset:60 ; 4-byte Folded Spill
	buffer_load_dword v2, off, s[24:27], 0 offset:136 ; 4-byte Folded Reload
	buffer_load_dword v3, off, s[24:27], 0 offset:140 ; 4-byte Folded Reload
	;; [unrolled: 1-line block ×4, first 2 shown]
	v_mov_b32_e32 v8, v28
	v_mov_b32_e32 v9, v29
	s_waitcnt vmcnt(2)
	v_add_f64 v[0:1], v[38:39], v[2:3]
	s_waitcnt vmcnt(0)
	v_add_f64 v[62:63], v[8:9], v[6:7]
	v_mov_b32_e32 v27, v7
	v_add_f64 v[4:5], v[10:11], v[6:7]
	v_mov_b32_e32 v26, v6
	;; [unrolled: 2-line block ×3, first 2 shown]
	v_mov_b32_e32 v14, v2
	v_add_f64 v[0:1], v[0:1], -v[42:43]
	v_add_f64 v[6:7], v[62:63], -v[10:11]
	buffer_load_dword v10, off, s[24:27], 0 offset:176 ; 4-byte Folded Reload
	buffer_load_dword v11, off, s[24:27], 0 offset:180 ; 4-byte Folded Reload
	s_nop 0
	buffer_store_dword v56, off, s[24:27], 0 offset:96 ; 4-byte Folded Spill
	s_nop 0
	buffer_store_dword v57, off, s[24:27], 0 offset:100 ; 4-byte Folded Spill
	v_add_f64 v[4:5], v[4:5], -v[8:9]
	v_add_f64 v[2:3], v[46:47], -v[38:39]
	;; [unrolled: 1-line block ×6, first 2 shown]
	v_mul_f64 v[0:1], v[0:1], 0.5
	v_mul_f64 v[6:7], v[6:7], 0.5
	;; [unrolled: 1-line block ×4, first 2 shown]
	s_waitcnt vmcnt(2)
	v_add_f64 v[8:9], v[50:51], v[10:11]
	v_add_f64 v[36:37], v[56:57], v[10:11]
	v_mov_b32_e32 v17, v11
	v_mov_b32_e32 v16, v10
	v_add_f64 v[8:9], v[8:9], -v[56:57]
	v_add_f64 v[10:11], v[36:37], -v[50:51]
	;; [unrolled: 1-line block ×4, first 2 shown]
	v_mul_f64 v[8:9], v[8:9], 0.5
	v_mul_f64 v[10:11], v[10:11], 0.5
	v_mul_f64 v[12:13], v[6:7], v[8:9]
	v_fma_f64 v[48:49], v[4:5], v[10:11], -v[12:13]
	v_mul_f64 v[10:11], v[0:1], v[10:11]
	v_fma_f64 v[40:41], v[2:3], v[8:9], -v[10:11]
	v_mul_f64 v[2:3], v[2:3], v[4:5]
	v_mov_b32_e32 v4, v18
	v_mov_b32_e32 v5, v19
	v_fma_f64 v[0:1], v[0:1], v[6:7], -v[2:3]
	buffer_store_dword v0, off, s[24:27], 0 offset:104 ; 4-byte Folded Spill
	s_nop 0
	buffer_store_dword v1, off, s[24:27], 0 offset:108 ; 4-byte Folded Spill
	buffer_load_dword v32, off, s[24:27], 0 offset:120 ; 4-byte Folded Reload
	buffer_load_dword v33, off, s[24:27], 0 offset:124 ; 4-byte Folded Reload
	buffer_load_dword v18, off, s[24:27], 0 offset:112 ; 4-byte Folded Reload
	buffer_load_dword v19, off, s[24:27], 0 offset:116 ; 4-byte Folded Reload
	s_waitcnt vmcnt(2)
	v_add_f64 v[2:3], v[14:15], v[32:33]
	v_add_f64 v[0:1], v[4:5], v[32:33]
	v_add_f64 v[4:5], v[2:3], -v[4:5]
	v_add_f64 v[0:1], v[0:1], -v[14:15]
	;; [unrolled: 1-line block ×3, first 2 shown]
	s_waitcnt vmcnt(0)
	v_add_f64 v[4:5], v[44:45], v[18:19]
	v_add_f64 v[0:1], v[0:1], -v[38:39]
	v_mul_f64 v[6:7], v[6:7], 0.5
	v_add_f64 v[8:9], v[4:5], -v[26:27]
	v_add_f64 v[4:5], v[26:27], v[18:19]
	buffer_load_dword v26, off, s[24:27], 0 offset:128 ; 4-byte Folded Reload
	buffer_load_dword v27, off, s[24:27], 0 offset:132 ; 4-byte Folded Reload
	v_mul_f64 v[0:1], v[0:1], 0.5
	v_add_f64 v[8:9], v[8:9], -v[30:31]
	v_add_f64 v[10:11], v[4:5], -v[44:45]
	v_mul_f64 v[8:9], v[8:9], 0.5
	v_add_f64 v[10:11], v[10:11], -v[30:31]
	v_mul_f64 v[10:11], v[10:11], 0.5
	s_waitcnt vmcnt(0)
	v_add_f64 v[12:13], v[58:59], v[26:27]
	v_add_f64 v[34:35], v[16:17], v[26:27]
	v_add_f64 v[12:13], v[12:13], -v[16:17]
	v_add_f64 v[14:15], v[34:35], -v[58:59]
	;; [unrolled: 1-line block ×4, first 2 shown]
	v_mul_f64 v[12:13], v[12:13], 0.5
	v_mul_f64 v[14:15], v[14:15], 0.5
	v_mul_f64 v[16:17], v[10:11], v[12:13]
	v_fma_f64 v[56:57], v[8:9], v[14:15], -v[16:17]
	buffer_load_dword v16, off, s[24:27], 0 offset:152 ; 4-byte Folded Reload
	buffer_load_dword v17, off, s[24:27], 0 offset:156 ; 4-byte Folded Reload
	v_mul_f64 v[14:15], v[0:1], v[14:15]
	v_fma_f64 v[42:43], v[6:7], v[12:13], -v[14:15]
	v_mul_f64 v[6:7], v[6:7], v[8:9]
	v_mov_b32_e32 v14, v32
	v_mov_b32_e32 v15, v33
	;; [unrolled: 1-line block ×5, first 2 shown]
	v_fma_f64 v[38:39], v[0:1], v[10:11], -v[6:7]
	v_mov_b32_e32 v1, s23
	v_add_co_u32_e32 v0, vcc, s22, v54
	v_addc_co_u32_e32 v1, vcc, v1, v55, vcc
	v_mov_b32_e32 v7, s1
	v_add_co_u32_e32 v6, vcc, s0, v54
	v_addc_co_u32_e32 v7, vcc, v7, v55, vcc
	v_add_co_u32_e32 v8, vcc, s2, v54
	v_addc_co_u32_e32 v9, vcc, v9, v55, vcc
	s_mov_b32 s0, 0
	s_mov_b32 s1, 0x3fd00000
	s_waitcnt vmcnt(0)
	v_add_f64 v[10:11], v[16:17], v[14:15]
	v_add_f64 v[12:13], v[24:25], v[16:17]
	v_mov_b32_e32 v33, v17
	v_mov_b32_e32 v32, v16
	v_add_f64 v[10:11], v[10:11], -v[24:25]
	v_add_f64 v[12:13], v[12:13], -v[14:15]
	buffer_load_dword v14, off, s[24:27], 0 offset:24 ; 4-byte Folded Reload
	buffer_load_dword v15, off, s[24:27], 0 offset:28 ; 4-byte Folded Reload
	buffer_load_dword v24, off, s[24:27], 0 ; 4-byte Folded Reload
	buffer_load_dword v25, off, s[24:27], 0 offset:4 ; 4-byte Folded Reload
	s_waitcnt vmcnt(2)
	v_add_f64 v[12:13], v[12:13], -v[14:15]
	v_add_f64 v[14:15], v[10:11], -v[14:15]
	s_waitcnt vmcnt(0)
	v_add_f64 v[10:11], v[24:25], v[18:19]
	v_add_f64 v[16:17], v[22:23], v[24:25]
	v_mov_b32_e32 v55, v25
	v_mov_b32_e32 v54, v24
	;; [unrolled: 1-line block ×4, first 2 shown]
	v_mul_f64 v[12:13], v[12:13], 0.5
	v_mul_f64 v[14:15], v[14:15], 0.5
	v_add_f64 v[10:11], v[10:11], -v[22:23]
	v_add_f64 v[16:17], v[16:17], -v[18:19]
	;; [unrolled: 1-line block ×4, first 2 shown]
	buffer_load_dword v20, off, s[24:27], 0 offset:8 ; 4-byte Folded Reload
	buffer_load_dword v21, off, s[24:27], 0 offset:12 ; 4-byte Folded Reload
	;; [unrolled: 1-line block ×6, first 2 shown]
	v_add_f64 v[16:17], v[16:17], -v[44:45]
	v_add_f64 v[30:31], v[10:11], -v[32:33]
	v_mul_f64 v[16:17], v[16:17], 0.5
	s_waitcnt vmcnt(4)
	v_add_f64 v[2:3], v[2:3], -v[20:21]
	s_waitcnt vmcnt(2)
	v_add_f64 v[4:5], v[4:5], -v[22:23]
	s_waitcnt vmcnt(0)
	v_add_f64 v[22:23], v[28:29], v[26:27]
	v_add_f64 v[20:21], v[62:63], -v[24:25]
	v_add_f64 v[24:25], v[52:53], v[28:29]
	v_mov_b32_e32 v45, v29
	v_mov_b32_e32 v44, v28
	v_add_f64 v[28:29], v[36:37], -v[26:27]
	v_add_f64 v[32:33], v[2:3], -v[32:33]
	global_load_dwordx2 v[10:11], v[0:1], off
	global_load_dwordx2 v[2:3], v[6:7], off
	s_nop 0
	global_load_dwordx2 v[6:7], v[8:9], off
	v_add_f64 v[22:23], v[22:23], -v[52:53]
	v_mul_f64 v[8:9], v[18:19], 0.5
	v_add_f64 v[24:25], v[24:25], -v[26:27]
	v_add_f64 v[20:21], v[20:21], -v[54:55]
	;; [unrolled: 1-line block ×6, first 2 shown]
	v_mul_f64 v[20:21], v[20:21], 0.5
	v_mul_f64 v[4:5], v[4:5], 0.5
	;; [unrolled: 1-line block ×6, first 2 shown]
	buffer_load_dword v22, off, s[24:27], 0 offset:96 ; 4-byte Folded Reload
	buffer_load_dword v23, off, s[24:27], 0 offset:100 ; 4-byte Folded Reload
	v_mul_f64 v[0:1], v[24:25], 0.5
	v_mul_f64 v[24:25], v[8:9], v[0:1]
	s_waitcnt vmcnt(0)
	v_add_f64 v[22:23], v[34:35], -v[22:23]
	v_fma_f64 v[34:35], v[16:17], v[18:19], -v[24:25]
	v_mul_f64 v[18:19], v[12:13], v[18:19]
	buffer_load_dword v24, off, s[24:27], 0 offset:64 ; 4-byte Folded Reload
	buffer_load_dword v25, off, s[24:27], 0 offset:68 ; 4-byte Folded Reload
	;; [unrolled: 1-line block ×4, first 2 shown]
	v_mul_f64 v[16:17], v[14:15], v[16:17]
	v_add_f64 v[22:23], v[22:23], -v[44:45]
	v_fma_f64 v[18:19], v[14:15], v[0:1], -v[18:19]
	buffer_load_dword v0, off, s[24:27], 0 offset:48 ; 4-byte Folded Reload
	buffer_load_dword v1, off, s[24:27], 0 offset:52 ; 4-byte Folded Reload
	v_mul_f64 v[14:15], v[4:5], v[26:27]
	buffer_load_dword v44, off, s[24:27], 0 offset:72 ; 4-byte Folded Reload
	buffer_load_dword v45, off, s[24:27], 0 offset:76 ; 4-byte Folded Reload
	s_waitcnt vmcnt(6)
	v_fma_f64 v[36:37], v[24:25], s[0:1], 0
	v_mul_f64 v[24:25], v[22:23], 0.5
	s_waitcnt vmcnt(2)
	v_fma_f64 v[22:23], v[0:1], s[0:1], 0
	v_fma_f64 v[0:1], v[12:13], v[8:9], -v[16:17]
	v_mul_f64 v[8:9], v[30:31], v[20:21]
	buffer_load_dword v16, off, s[24:27], 0 offset:40 ; 4-byte Folded Reload
	buffer_load_dword v17, off, s[24:27], 0 offset:44 ; 4-byte Folded Reload
	v_fma_f64 v[32:33], v[46:47], s[0:1], v[36:37]
	v_mul_f64 v[54:55], v[28:29], v[24:25]
	v_fma_f64 v[24:25], v[20:21], v[24:25], -v[14:15]
	v_fma_f64 v[46:47], v[46:47], s[0:1], 0
	s_waitcnt vmcnt(2)
	v_fma_f64 v[14:15], v[44:45], s[0:1], v[22:23]
	v_fma_f64 v[8:9], v[28:29], v[4:5], -v[8:9]
	buffer_load_dword v4, off, s[24:27], 0 offset:32 ; 4-byte Folded Reload
	buffer_load_dword v5, off, s[24:27], 0 offset:36 ; 4-byte Folded Reload
	v_fma_f64 v[58:59], v[34:35], s[0:1], v[32:33]
	v_fma_f64 v[32:33], v[48:49], s[0:1], v[32:33]
	v_fma_f64 v[12:13], v[30:31], v[26:27], -v[54:55]
	buffer_load_dword v50, off, s[24:27], 0 offset:56 ; 4-byte Folded Reload
	buffer_load_dword v51, off, s[24:27], 0 offset:60 ; 4-byte Folded Reload
	v_fma_f64 v[30:31], v[18:19], s[0:1], v[14:15]
	v_fma_f64 v[14:15], v[40:41], s[0:1], v[14:15]
	;; [unrolled: 1-line block ×4, first 2 shown]
	v_mul_f64 v[26:27], v[10:11], -v[58:59]
	v_mul_f64 v[28:29], v[10:11], -v[32:33]
	v_fma_f64 v[58:59], v[48:49], s[0:1], 0
	v_fma_f64 v[54:55], v[56:57], s[0:1], v[54:55]
	;; [unrolled: 1-line block ×3, first 2 shown]
	s_waitcnt vmcnt(4)
	v_fma_f64 v[16:17], v[16:17], s[0:1], 0
	s_waitcnt vmcnt(2)
	v_lshlrev_b64 v[20:21], 3, v[4:5]
	v_mov_b32_e32 v5, s9
	v_add_co_u32_e32 v4, vcc, s8, v20
	v_addc_co_u32_e32 v5, vcc, v5, v21, vcc
	global_store_dwordx4 v[4:5], v[26:29], off
	buffer_load_dword v52, off, s[24:27], 0 offset:104 ; 4-byte Folded Reload
	buffer_load_dword v53, off, s[24:27], 0 offset:108 ; 4-byte Folded Reload
	s_waitcnt vmcnt(3)
	v_fma_f64 v[32:33], v[50:51], s[0:1], v[16:17]
	v_mul_f64 v[26:27], v[2:3], -v[30:31]
	v_mul_f64 v[28:29], v[2:3], -v[14:15]
	v_mov_b32_e32 v15, s11
	v_add_co_u32_e32 v14, vcc, s10, v20
	v_addc_co_u32_e32 v15, vcc, v15, v21, vcc
	v_fma_f64 v[30:31], v[0:1], s[0:1], v[32:33]
	v_add_co_u32_e32 v20, vcc, s12, v20
	global_store_dwordx4 v[14:15], v[26:29], off
	s_waitcnt vmcnt(1)
	v_fma_f64 v[32:33], v[52:53], s[0:1], v[32:33]
	v_mul_f64 v[26:27], v[6:7], -v[30:31]
	v_mul_f64 v[30:31], v[10:11], -v[54:55]
	v_fma_f64 v[54:55], v[34:35], s[0:1], v[46:47]
	v_fma_f64 v[46:47], v[48:49], s[0:1], v[46:47]
	v_mul_f64 v[28:29], v[6:7], -v[32:33]
	v_mul_f64 v[32:33], v[10:11], -v[36:37]
	v_fma_f64 v[36:37], v[56:57], s[0:1], 0
	v_fma_f64 v[56:57], v[56:57], s[0:1], v[58:59]
	v_mov_b32_e32 v58, s13
	v_addc_co_u32_e32 v21, vcc, v58, v21, vcc
	global_store_dwordx4 v[20:21], v[26:29], off
	global_store_dwordx4 v[4:5], v[30:33], off offset:16
	v_fma_f64 v[34:35], v[34:35], s[0:1], v[36:37]
	v_fma_f64 v[36:37], v[24:25], s[0:1], v[54:55]
	v_fma_f64 v[30:31], v[44:45], s[0:1], 0
	v_fma_f64 v[26:27], v[24:25], s[0:1], v[46:47]
	v_fma_f64 v[28:29], v[24:25], s[0:1], v[56:57]
	v_fma_f64 v[46:47], v[40:41], s[0:1], v[22:23]
	v_fma_f64 v[22:23], v[42:43], s[0:1], v[22:23]
	v_fma_f64 v[32:33], v[24:25], s[0:1], v[34:35]
	v_mul_f64 v[24:25], v[10:11], -v[36:37]
	v_fma_f64 v[34:35], v[40:41], s[0:1], 0
	v_fma_f64 v[36:37], v[42:43], s[0:1], 0
	;; [unrolled: 1-line block ×4, first 2 shown]
	v_mul_f64 v[26:27], v[10:11], -v[26:27]
	v_mul_f64 v[28:29], v[10:11], -v[28:29]
	;; [unrolled: 1-line block ×3, first 2 shown]
	v_fma_f64 v[10:11], v[42:43], s[0:1], v[46:47]
	v_fma_f64 v[34:35], v[42:43], s[0:1], v[34:35]
	;; [unrolled: 1-line block ×7, first 2 shown]
	v_mul_f64 v[10:11], v[2:3], -v[10:11]
	v_fma_f64 v[42:43], v[12:13], s[0:1], v[34:35]
	v_fma_f64 v[46:47], v[12:13], s[0:1], v[36:37]
	v_mov_b32_e32 v12, v52
	v_mov_b32_e32 v13, v53
	v_fma_f64 v[34:35], v[12:13], s[0:1], 0
	v_fma_f64 v[36:37], v[38:39], s[0:1], 0
	;; [unrolled: 1-line block ×6, first 2 shown]
	v_mul_f64 v[12:13], v[2:3], -v[18:19]
	v_mul_f64 v[18:19], v[2:3], -v[32:33]
	v_fma_f64 v[34:35], v[38:39], s[0:1], v[34:35]
	v_fma_f64 v[36:37], v[0:1], s[0:1], v[36:37]
	;; [unrolled: 1-line block ×4, first 2 shown]
	v_mul_f64 v[16:17], v[2:3], -v[22:23]
	v_fma_f64 v[22:23], v[8:9], s[0:1], v[50:51]
	v_fma_f64 v[40:41], v[8:9], s[0:1], v[40:41]
	;; [unrolled: 1-line block ×4, first 2 shown]
	v_mul_f64 v[32:33], v[6:7], -v[38:39]
	v_mul_f64 v[34:35], v[6:7], -v[0:1]
	;; [unrolled: 1-line block ×8, first 2 shown]
	global_store_dwordx4 v[14:15], v[10:13], off offset:16
	global_store_dwordx4 v[20:21], v[32:35], off offset:16
	;; [unrolled: 1-line block ×8, first 2 shown]
.LBB1_2:
	s_endpgm
	.section	.rodata,"a",@progbits
	.p2align	6, 0x0
	.amdhsa_kernel _Z15integrateStressPdS_S_PKdS1_S1_PKiS1_S1_S1_S_i
		.amdhsa_group_segment_fixed_size 0
		.amdhsa_private_segment_fixed_size 196
		.amdhsa_kernarg_size 352
		.amdhsa_user_sgpr_count 6
		.amdhsa_user_sgpr_private_segment_buffer 1
		.amdhsa_user_sgpr_dispatch_ptr 0
		.amdhsa_user_sgpr_queue_ptr 0
		.amdhsa_user_sgpr_kernarg_segment_ptr 1
		.amdhsa_user_sgpr_dispatch_id 0
		.amdhsa_user_sgpr_flat_scratch_init 0
		.amdhsa_user_sgpr_private_segment_size 0
		.amdhsa_uses_dynamic_stack 0
		.amdhsa_system_sgpr_private_segment_wavefront_offset 1
		.amdhsa_system_sgpr_workgroup_id_x 1
		.amdhsa_system_sgpr_workgroup_id_y 0
		.amdhsa_system_sgpr_workgroup_id_z 0
		.amdhsa_system_sgpr_workgroup_info 0
		.amdhsa_system_vgpr_workitem_id 0
		.amdhsa_next_free_vgpr 64
		.amdhsa_next_free_sgpr 28
		.amdhsa_reserve_vcc 1
		.amdhsa_reserve_flat_scratch 0
		.amdhsa_float_round_mode_32 0
		.amdhsa_float_round_mode_16_64 0
		.amdhsa_float_denorm_mode_32 3
		.amdhsa_float_denorm_mode_16_64 3
		.amdhsa_dx10_clamp 1
		.amdhsa_ieee_mode 1
		.amdhsa_fp16_overflow 0
		.amdhsa_exception_fp_ieee_invalid_op 0
		.amdhsa_exception_fp_denorm_src 0
		.amdhsa_exception_fp_ieee_div_zero 0
		.amdhsa_exception_fp_ieee_overflow 0
		.amdhsa_exception_fp_ieee_underflow 0
		.amdhsa_exception_fp_ieee_inexact 0
		.amdhsa_exception_int_div_zero 0
	.end_amdhsa_kernel
	.text
.Lfunc_end1:
	.size	_Z15integrateStressPdS_S_PKdS1_S1_PKiS1_S1_S1_S_i, .Lfunc_end1-_Z15integrateStressPdS_S_PKdS1_S1_PKiS1_S1_S1_S_i
                                        ; -- End function
	.set _Z15integrateStressPdS_S_PKdS1_S1_PKiS1_S1_S1_S_i.num_vgpr, 64
	.set _Z15integrateStressPdS_S_PKdS1_S1_PKiS1_S1_S1_S_i.num_agpr, 0
	.set _Z15integrateStressPdS_S_PKdS1_S1_PKiS1_S1_S1_S_i.numbered_sgpr, 28
	.set _Z15integrateStressPdS_S_PKdS1_S1_PKiS1_S1_S1_S_i.num_named_barrier, 0
	.set _Z15integrateStressPdS_S_PKdS1_S1_PKiS1_S1_S1_S_i.private_seg_size, 196
	.set _Z15integrateStressPdS_S_PKdS1_S1_PKiS1_S1_S1_S_i.uses_vcc, 1
	.set _Z15integrateStressPdS_S_PKdS1_S1_PKiS1_S1_S1_S_i.uses_flat_scratch, 0
	.set _Z15integrateStressPdS_S_PKdS1_S1_PKiS1_S1_S1_S_i.has_dyn_sized_stack, 0
	.set _Z15integrateStressPdS_S_PKdS1_S1_PKiS1_S1_S1_S_i.has_recursion, 0
	.set _Z15integrateStressPdS_S_PKdS1_S1_PKiS1_S1_S1_S_i.has_indirect_call, 0
	.section	.AMDGPU.csdata,"",@progbits
; Kernel info:
; codeLenInByte = 4812
; TotalNumSgprs: 32
; NumVgprs: 64
; ScratchSize: 196
; MemoryBound: 0
; FloatMode: 240
; IeeeMode: 1
; LDSByteSize: 0 bytes/workgroup (compile time only)
; SGPRBlocks: 3
; VGPRBlocks: 15
; NumSGPRsForWavesPerEU: 32
; NumVGPRsForWavesPerEU: 64
; Occupancy: 4
; WaveLimiterHint : 1
; COMPUTE_PGM_RSRC2:SCRATCH_EN: 1
; COMPUTE_PGM_RSRC2:USER_SGPR: 6
; COMPUTE_PGM_RSRC2:TRAP_HANDLER: 0
; COMPUTE_PGM_RSRC2:TGID_X_EN: 1
; COMPUTE_PGM_RSRC2:TGID_Y_EN: 0
; COMPUTE_PGM_RSRC2:TGID_Z_EN: 0
; COMPUTE_PGM_RSRC2:TIDIG_COMP_CNT: 0
	.text
	.protected	_Z15acc_final_forcePKdS0_S0_PdS1_S1_PKiS3_i ; -- Begin function _Z15acc_final_forcePKdS0_S0_PdS1_S1_PKiS3_i
	.globl	_Z15acc_final_forcePKdS0_S0_PdS1_S1_PKiS3_i
	.p2align	8
	.type	_Z15acc_final_forcePKdS0_S0_PdS1_S1_PKiS3_i,@function
_Z15acc_final_forcePKdS0_S0_PdS1_S1_PKiS3_i: ; @_Z15acc_final_forcePKdS0_S0_PdS1_S1_PKiS3_i
; %bb.0:
	s_load_dword s0, s[4:5], 0x54
	s_load_dword s1, s[4:5], 0x40
	s_waitcnt lgkmcnt(0)
	s_and_b32 s0, s0, 0xffff
	s_mul_i32 s6, s6, s0
	v_add_u32_e32 v0, s6, v0
	v_cmp_gt_i32_e32 vcc, s1, v0
	s_and_saveexec_b64 s[0:1], vcc
	s_cbranch_execz .LBB2_6
; %bb.1:
	s_load_dwordx8 s[8:15], s[4:5], 0x18
	v_ashrrev_i32_e32 v1, 31, v0
	v_lshlrev_b64 v[2:3], 2, v[0:1]
	v_mov_b32_e32 v6, 0
	v_mov_b32_e32 v7, 0
	s_waitcnt lgkmcnt(0)
	v_mov_b32_e32 v4, s15
	v_add_co_u32_e32 v2, vcc, s14, v2
	v_addc_co_u32_e32 v3, vcc, v4, v3, vcc
	global_load_dwordx2 v[8:9], v[2:3], off
	v_mov_b32_e32 v2, 0
	v_mov_b32_e32 v4, 0
	s_mov_b32 s14, 0
	v_mov_b32_e32 v3, 0
	v_mov_b32_e32 v5, 0
	s_waitcnt vmcnt(0)
	v_sub_u32_e32 v10, v9, v8
	v_cmp_lt_i32_e32 vcc, 0, v10
	s_and_saveexec_b64 s[2:3], vcc
	s_cbranch_execz .LBB2_5
; %bb.2:
	s_load_dwordx2 s[0:1], s[4:5], 0x38
	s_load_dwordx4 s[16:19], s[4:5], 0x0
	s_load_dwordx2 s[6:7], s[4:5], 0x10
	v_ashrrev_i32_e32 v9, 31, v8
	v_lshlrev_b64 v[2:3], 2, v[8:9]
	s_waitcnt lgkmcnt(0)
	v_mov_b32_e32 v4, s1
	v_add_co_u32_e32 v8, vcc, s0, v2
	v_addc_co_u32_e32 v9, vcc, v4, v3, vcc
	v_mov_b32_e32 v2, 0
	v_mov_b32_e32 v4, 0
	v_mov_b32_e32 v6, 0
	v_mov_b32_e32 v3, 0
	s_mov_b64 s[4:5], 0
	v_mov_b32_e32 v11, s17
	v_mov_b32_e32 v12, s19
	;; [unrolled: 1-line block ×5, first 2 shown]
.LBB2_3:                                ; =>This Inner Loop Header: Depth=1
	global_load_dword v14, v[8:9], off
	s_add_i32 s14, s14, 1
	v_cmp_ge_i32_e64 s[0:1], s14, v10
	s_or_b64 s[4:5], s[0:1], s[4:5]
	s_waitcnt vmcnt(0)
	v_ashrrev_i32_e32 v15, 31, v14
	v_lshlrev_b64 v[14:15], 3, v[14:15]
	v_add_co_u32_e32 v16, vcc, s16, v14
	v_addc_co_u32_e32 v17, vcc, v11, v15, vcc
	v_add_co_u32_e32 v18, vcc, s18, v14
	v_addc_co_u32_e32 v19, vcc, v12, v15, vcc
	;; [unrolled: 2-line block ×3, first 2 shown]
	global_load_dwordx2 v[20:21], v[16:17], off
	global_load_dwordx2 v[22:23], v[18:19], off
	;; [unrolled: 1-line block ×3, first 2 shown]
	v_add_co_u32_e32 v8, vcc, 4, v8
	v_addc_co_u32_e32 v9, vcc, 0, v9, vcc
	s_waitcnt vmcnt(2)
	v_add_f64 v[6:7], v[6:7], v[20:21]
	s_waitcnt vmcnt(1)
	v_add_f64 v[4:5], v[4:5], v[22:23]
	;; [unrolled: 2-line block ×3, first 2 shown]
	s_andn2_b64 exec, exec, s[4:5]
	s_cbranch_execnz .LBB2_3
; %bb.4:
	s_or_b64 exec, exec, s[4:5]
.LBB2_5:
	s_or_b64 exec, exec, s[2:3]
	v_lshlrev_b64 v[0:1], 3, v[0:1]
	v_mov_b32_e32 v9, s9
	v_add_co_u32_e32 v8, vcc, s8, v0
	v_addc_co_u32_e32 v9, vcc, v9, v1, vcc
	global_store_dwordx2 v[8:9], v[6:7], off
	v_mov_b32_e32 v7, s11
	v_add_co_u32_e32 v6, vcc, s10, v0
	v_addc_co_u32_e32 v7, vcc, v7, v1, vcc
	global_store_dwordx2 v[6:7], v[4:5], off
	;; [unrolled: 4-line block ×3, first 2 shown]
.LBB2_6:
	s_endpgm
	.section	.rodata,"a",@progbits
	.p2align	6, 0x0
	.amdhsa_kernel _Z15acc_final_forcePKdS0_S0_PdS1_S1_PKiS3_i
		.amdhsa_group_segment_fixed_size 0
		.amdhsa_private_segment_fixed_size 0
		.amdhsa_kernarg_size 328
		.amdhsa_user_sgpr_count 6
		.amdhsa_user_sgpr_private_segment_buffer 1
		.amdhsa_user_sgpr_dispatch_ptr 0
		.amdhsa_user_sgpr_queue_ptr 0
		.amdhsa_user_sgpr_kernarg_segment_ptr 1
		.amdhsa_user_sgpr_dispatch_id 0
		.amdhsa_user_sgpr_flat_scratch_init 0
		.amdhsa_user_sgpr_private_segment_size 0
		.amdhsa_uses_dynamic_stack 0
		.amdhsa_system_sgpr_private_segment_wavefront_offset 0
		.amdhsa_system_sgpr_workgroup_id_x 1
		.amdhsa_system_sgpr_workgroup_id_y 0
		.amdhsa_system_sgpr_workgroup_id_z 0
		.amdhsa_system_sgpr_workgroup_info 0
		.amdhsa_system_vgpr_workitem_id 0
		.amdhsa_next_free_vgpr 26
		.amdhsa_next_free_sgpr 20
		.amdhsa_reserve_vcc 1
		.amdhsa_reserve_flat_scratch 0
		.amdhsa_float_round_mode_32 0
		.amdhsa_float_round_mode_16_64 0
		.amdhsa_float_denorm_mode_32 3
		.amdhsa_float_denorm_mode_16_64 3
		.amdhsa_dx10_clamp 1
		.amdhsa_ieee_mode 1
		.amdhsa_fp16_overflow 0
		.amdhsa_exception_fp_ieee_invalid_op 0
		.amdhsa_exception_fp_denorm_src 0
		.amdhsa_exception_fp_ieee_div_zero 0
		.amdhsa_exception_fp_ieee_overflow 0
		.amdhsa_exception_fp_ieee_underflow 0
		.amdhsa_exception_fp_ieee_inexact 0
		.amdhsa_exception_int_div_zero 0
	.end_amdhsa_kernel
	.text
.Lfunc_end2:
	.size	_Z15acc_final_forcePKdS0_S0_PdS1_S1_PKiS3_i, .Lfunc_end2-_Z15acc_final_forcePKdS0_S0_PdS1_S1_PKiS3_i
                                        ; -- End function
	.set _Z15acc_final_forcePKdS0_S0_PdS1_S1_PKiS3_i.num_vgpr, 26
	.set _Z15acc_final_forcePKdS0_S0_PdS1_S1_PKiS3_i.num_agpr, 0
	.set _Z15acc_final_forcePKdS0_S0_PdS1_S1_PKiS3_i.numbered_sgpr, 20
	.set _Z15acc_final_forcePKdS0_S0_PdS1_S1_PKiS3_i.num_named_barrier, 0
	.set _Z15acc_final_forcePKdS0_S0_PdS1_S1_PKiS3_i.private_seg_size, 0
	.set _Z15acc_final_forcePKdS0_S0_PdS1_S1_PKiS3_i.uses_vcc, 1
	.set _Z15acc_final_forcePKdS0_S0_PdS1_S1_PKiS3_i.uses_flat_scratch, 0
	.set _Z15acc_final_forcePKdS0_S0_PdS1_S1_PKiS3_i.has_dyn_sized_stack, 0
	.set _Z15acc_final_forcePKdS0_S0_PdS1_S1_PKiS3_i.has_recursion, 0
	.set _Z15acc_final_forcePKdS0_S0_PdS1_S1_PKiS3_i.has_indirect_call, 0
	.section	.AMDGPU.csdata,"",@progbits
; Kernel info:
; codeLenInByte = 452
; TotalNumSgprs: 24
; NumVgprs: 26
; ScratchSize: 0
; MemoryBound: 0
; FloatMode: 240
; IeeeMode: 1
; LDSByteSize: 0 bytes/workgroup (compile time only)
; SGPRBlocks: 2
; VGPRBlocks: 6
; NumSGPRsForWavesPerEU: 24
; NumVGPRsForWavesPerEU: 26
; Occupancy: 9
; WaveLimiterHint : 1
; COMPUTE_PGM_RSRC2:SCRATCH_EN: 0
; COMPUTE_PGM_RSRC2:USER_SGPR: 6
; COMPUTE_PGM_RSRC2:TRAP_HANDLER: 0
; COMPUTE_PGM_RSRC2:TGID_X_EN: 1
; COMPUTE_PGM_RSRC2:TGID_Y_EN: 0
; COMPUTE_PGM_RSRC2:TGID_Z_EN: 0
; COMPUTE_PGM_RSRC2:TIDIG_COMP_CNT: 0
	.text
	.protected	_Z3hgcPdS_S_S_S_S_S_PKdS1_S1_PKiS1_S1_Pii ; -- Begin function _Z3hgcPdS_S_S_S_S_S_PKdS1_S1_PKiS1_S1_Pii
	.globl	_Z3hgcPdS_S_S_S_S_S_PKdS1_S1_PKiS1_S1_Pii
	.p2align	8
	.type	_Z3hgcPdS_S_S_S_S_S_PKdS1_S1_PKiS1_S1_Pii,@function
_Z3hgcPdS_S_S_S_S_S_PKdS1_S1_PKiS1_S1_Pii: ; @_Z3hgcPdS_S_S_S_S_S_PKdS1_S1_PKiS1_S1_Pii
; %bb.0:
	s_mov_b64 s[38:39], s[2:3]
	s_mov_b64 s[36:37], s[0:1]
	s_load_dword s0, s[4:5], 0x84
	s_load_dword s1, s[4:5], 0x70
	s_add_u32 s36, s36, s7
	s_addc_u32 s37, s37, 0
	s_waitcnt lgkmcnt(0)
	s_and_b32 s0, s0, 0xffff
	s_mul_i32 s6, s6, s0
	v_add_u32_e32 v52, s6, v0
	v_cmp_gt_i32_e32 vcc, s1, v52
	s_and_saveexec_b64 s[0:1], vcc
	s_cbranch_execz .LBB3_3
; %bb.1:
	s_load_dwordx8 s[8:15], s[4:5], 0x40
	v_lshlrev_b32_e32 v61, 3, v52
	v_ashrrev_i32_e32 v62, 31, v61
	v_lshlrev_b64 v[0:1], 2, v[61:62]
	s_mov_b32 s0, 0x55555555
	s_waitcnt lgkmcnt(0)
	v_mov_b32_e32 v2, s13
	v_add_co_u32_e32 v6, vcc, s12, v0
	v_addc_co_u32_e32 v7, vcc, v2, v1, vcc
	global_load_dwordx4 v[0:3], v[6:7], off
	global_load_dwordx4 v[23:26], v[6:7], off offset:16
	v_mov_b32_e32 v12, s9
	v_mov_b32_e32 v13, s9
	;; [unrolled: 1-line block ×8, first 2 shown]
	s_mov_b32 s1, 0x3fb55555
	s_load_dwordx8 s[16:23], s[4:5], 0x0
	s_load_dwordx8 s[24:31], s[4:5], 0x20
	s_waitcnt vmcnt(1)
	v_ashrrev_i32_e32 v7, 31, v0
	v_mov_b32_e32 v6, v0
	v_ashrrev_i32_e32 v9, 31, v1
	v_mov_b32_e32 v8, v1
	;; [unrolled: 2-line block ×4, first 2 shown]
	v_lshlrev_b64 v[2:3], 3, v[6:7]
	v_lshlrev_b64 v[27:28], 3, v[8:9]
	;; [unrolled: 1-line block ×3, first 2 shown]
	v_mov_b32_e32 v9, v3
	v_mov_b32_e32 v8, v2
	buffer_store_dword v27, off, s[36:39], 0 offset:200 ; 4-byte Folded Spill
	s_nop 0
	buffer_store_dword v28, off, s[36:39], 0 offset:204 ; 4-byte Folded Spill
	buffer_store_dword v20, off, s[36:39], 0 offset:152 ; 4-byte Folded Spill
	s_nop 0
	buffer_store_dword v21, off, s[36:39], 0 offset:156 ; 4-byte Folded Spill
	;; [unrolled: 3-line block ×3, first 2 shown]
	v_lshlrev_b64 v[4:5], 3, v[10:11]
	v_add_co_u32_e32 v0, vcc, s8, v8
	v_addc_co_u32_e32 v1, vcc, v12, v9, vcc
	v_add_co_u32_e32 v2, vcc, s8, v27
	v_addc_co_u32_e32 v3, vcc, v13, v28, vcc
	v_add_co_u32_e32 v6, vcc, s8, v20
	v_addc_co_u32_e32 v7, vcc, v14, v21, vcc
	v_add_co_u32_e32 v8, vcc, s10, v8
	v_addc_co_u32_e32 v9, vcc, v15, v9, vcc
	v_add_co_u32_e32 v10, vcc, s10, v27
	v_addc_co_u32_e32 v11, vcc, v17, v28, vcc
	v_add_co_u32_e32 v12, vcc, s10, v20
	v_addc_co_u32_e32 v13, vcc, v18, v21, vcc
	v_add_co_u32_e32 v14, vcc, s10, v4
	v_addc_co_u32_e32 v15, vcc, v19, v5, vcc
	global_load_dwordx2 v[21:22], v[2:3], off
	global_load_dwordx2 v[17:18], v[6:7], off
	s_nop 0
	global_load_dwordx2 v[6:7], v[8:9], off
	s_nop 0
	global_load_dwordx2 v[8:9], v[10:11], off
	global_load_dwordx2 v[27:28], v[12:13], off
	;; [unrolled: 1-line block ×3, first 2 shown]
	s_nop 0
	buffer_store_dword v4, off, s[36:39], 0 offset:136 ; 4-byte Folded Spill
	s_nop 0
	buffer_store_dword v5, off, s[36:39], 0 offset:140 ; 4-byte Folded Spill
	global_load_dwordx2 v[19:20], v[0:1], off
	s_waitcnt vmcnt(15)
	v_ashrrev_i32_e32 v1, 31, v23
	v_mov_b32_e32 v0, v23
	v_lshlrev_b64 v[55:56], 3, v[0:1]
	v_mov_b32_e32 v10, s11
	v_mov_b32_e32 v11, s11
	;; [unrolled: 1-line block ×3, first 2 shown]
	s_waitcnt vmcnt(5)
	v_mov_b32_e32 v34, v9
	v_add_co_u32_e32 v2, vcc, s8, v4
	v_addc_co_u32_e32 v3, vcc, v16, v5, vcc
	s_waitcnt vmcnt(0)
	v_mov_b32_e32 v13, v19
	v_mov_b32_e32 v14, v20
	;; [unrolled: 1-line block ×4, first 2 shown]
	global_load_dwordx2 v[19:20], v[2:3], off
	v_ashrrev_i32_e32 v3, 31, v24
	v_mov_b32_e32 v2, v24
	v_lshlrev_b64 v[53:54], 3, v[2:3]
	v_mov_b32_e32 v33, v8
	v_mov_b32_e32 v32, v7
	;; [unrolled: 1-line block ×4, first 2 shown]
	v_add_co_u32_e32 v0, vcc, s8, v53
	v_addc_co_u32_e32 v1, vcc, v8, v54, vcc
	v_add_co_u32_e32 v2, vcc, s10, v55
	v_ashrrev_i32_e32 v7, 31, v25
	v_mov_b32_e32 v6, v25
	v_addc_co_u32_e32 v3, vcc, v10, v56, vcc
	v_lshlrev_b64 v[4:5], 3, v[6:7]
	v_add_co_u32_e32 v6, vcc, s10, v53
	v_addc_co_u32_e32 v7, vcc, v11, v54, vcc
	v_mov_b32_e32 v9, s9
	global_load_dwordx2 v[10:11], v[0:1], off
	global_load_dwordx2 v[21:22], v[2:3], off
	;; [unrolled: 1-line block ×3, first 2 shown]
	v_add_co_u32_e32 v0, vcc, s8, v4
	v_addc_co_u32_e32 v1, vcc, v9, v5, vcc
	buffer_store_dword v4, off, s[36:39], 0 offset:264 ; 4-byte Folded Spill
	s_nop 0
	buffer_store_dword v5, off, s[36:39], 0 offset:268 ; 4-byte Folded Spill
	v_add_co_u32_e32 v2, vcc, s10, v4
	v_addc_co_u32_e32 v3, vcc, v12, v5, vcc
	global_load_dwordx2 v[48:49], v[0:1], off
	global_load_dwordx2 v[57:58], v[2:3], off
	v_mov_b32_e32 v1, s9
	v_add_co_u32_e32 v0, vcc, s8, v55
	v_addc_co_u32_e32 v1, vcc, v1, v56, vcc
	global_load_dwordx2 v[8:9], v[0:1], off
	v_ashrrev_i32_e32 v1, 31, v26
	v_mov_b32_e32 v0, v26
	v_lshlrev_b64 v[36:37], 3, v[0:1]
	v_mov_b32_e32 v2, s9
	v_add_co_u32_e32 v0, vcc, s8, v36
	v_addc_co_u32_e32 v1, vcc, v2, v37, vcc
	v_mov_b32_e32 v3, s11
	v_add_co_u32_e32 v2, vcc, s10, v36
	v_addc_co_u32_e32 v3, vcc, v3, v37, vcc
	global_load_dwordx2 v[50:51], v[0:1], off
	global_load_dwordx2 v[59:60], v[2:3], off
	v_add_f64 v[0:1], v[15:16], v[17:18]
	buffer_store_dword v0, off, s[36:39], 0 ; 4-byte Folded Spill
	s_nop 0
	buffer_store_dword v1, off, s[36:39], 0 offset:4 ; 4-byte Folded Spill
	v_add_f64 v[2:3], v[33:34], v[27:28]
	buffer_store_dword v2, off, s[36:39], 0 offset:272 ; 4-byte Folded Spill
	s_nop 0
	buffer_store_dword v3, off, s[36:39], 0 offset:276 ; 4-byte Folded Spill
	v_add_f64 v[25:26], v[27:28], v[29:30]
	s_waitcnt vmcnt(14)
	v_add_f64 v[4:5], v[17:18], v[19:20]
	v_mul_f64 v[0:1], v[0:1], v[25:26]
	buffer_store_dword v25, off, s[36:39], 0 offset:280 ; 4-byte Folded Spill
	s_nop 0
	buffer_store_dword v26, off, s[36:39], 0 offset:284 ; 4-byte Folded Spill
	v_fma_f64 v[0:1], v[4:5], v[2:3], -v[0:1]
	v_mov_b32_e32 v2, v4
	v_mov_b32_e32 v3, v5
	v_add_f64 v[4:5], v[31:32], v[29:30]
	buffer_store_dword v2, off, s[36:39], 0 offset:8 ; 4-byte Folded Spill
	s_nop 0
	buffer_store_dword v3, off, s[36:39], 0 offset:12 ; 4-byte Folded Spill
	buffer_store_dword v4, off, s[36:39], 0 offset:304 ; 4-byte Folded Spill
	s_nop 0
	buffer_store_dword v5, off, s[36:39], 0 offset:308 ; 4-byte Folded Spill
	;; [unrolled: 3-line block ×3, first 2 shown]
	buffer_store_dword v19, off, s[36:39], 0 offset:80 ; 4-byte Folded Spill
	buffer_store_dword v20, off, s[36:39], 0 offset:84 ; 4-byte Folded Spill
	v_mul_f64 v[2:3], v[2:3], v[4:5]
	v_add_f64 v[6:7], v[13:14], v[19:20]
	buffer_store_dword v6, off, s[36:39], 0 offset:40 ; 4-byte Folded Spill
	s_nop 0
	buffer_store_dword v7, off, s[36:39], 0 offset:44 ; 4-byte Folded Spill
	s_waitcnt vmcnt(18)
	buffer_store_dword v8, off, s[36:39], 0 offset:88 ; 4-byte Folded Spill
	s_nop 0
	buffer_store_dword v9, off, s[36:39], 0 offset:92 ; 4-byte Folded Spill
	buffer_store_dword v10, off, s[36:39], 0 offset:96 ; 4-byte Folded Spill
	;; [unrolled: 1-line block ×3, first 2 shown]
	v_add_f64 v[4:5], v[15:16], v[10:11]
	buffer_store_dword v4, off, s[36:39], 0 offset:24 ; 4-byte Folded Spill
	s_nop 0
	buffer_store_dword v5, off, s[36:39], 0 offset:28 ; 4-byte Folded Spill
	buffer_store_dword v21, off, s[36:39], 0 offset:104 ; 4-byte Folded Spill
	s_nop 0
	buffer_store_dword v22, off, s[36:39], 0 offset:108 ; 4-byte Folded Spill
	buffer_store_dword v23, off, s[36:39], 0 offset:112 ; 4-byte Folded Spill
	buffer_store_dword v24, off, s[36:39], 0 offset:116 ; 4-byte Folded Spill
	v_fma_f64 v[2:3], v[6:7], v[25:26], -v[2:3]
	v_add_f64 v[40:41], v[8:9], v[10:11]
	v_add_f64 v[46:47], v[21:22], v[23:24]
	;; [unrolled: 1-line block ×4, first 2 shown]
	s_waitcnt vmcnt(26)
	v_add_f64 v[38:39], v[21:22], v[59:60]
	v_fma_f64 v[0:1], v[4:5], v[46:47], v[0:1]
	v_add_f64 v[4:5], v[17:18], v[48:49]
	buffer_store_dword v4, off, s[36:39], 0 offset:32 ; 4-byte Folded Spill
	s_nop 0
	buffer_store_dword v5, off, s[36:39], 0 offset:36 ; 4-byte Folded Spill
	buffer_store_dword v6, off, s[36:39], 0 offset:312 ; 4-byte Folded Spill
	s_nop 0
	buffer_store_dword v7, off, s[36:39], 0 offset:316 ; 4-byte Folded Spill
	;; [unrolled: 3-line block ×3, first 2 shown]
	buffer_store_dword v29, off, s[36:39], 0 offset:128 ; 4-byte Folded Spill
	buffer_store_dword v30, off, s[36:39], 0 offset:132 ; 4-byte Folded Spill
	v_fma_f64 v[0:1], -v[40:41], v[42:43], v[0:1]
	v_add_f64 v[44:45], v[27:28], v[57:58]
	v_fma_f64 v[2:3], v[4:5], v[6:7], v[2:3]
	v_add_f64 v[4:5], v[10:11], v[48:49]
	buffer_store_dword v4, off, s[36:39], 0 offset:48 ; 4-byte Folded Spill
	s_nop 0
	buffer_store_dword v5, off, s[36:39], 0 offset:52 ; 4-byte Folded Spill
	v_add_f64 v[6:7], v[13:14], v[8:9]
	v_mov_b32_e32 v17, v16
	v_mov_b32_e32 v16, v15
	;; [unrolled: 1-line block ×10, first 2 shown]
	v_fma_f64 v[2:3], -v[4:5], v[44:45], v[2:3]
	v_add_f64 v[4:5], v[19:20], v[50:51]
	buffer_store_dword v4, off, s[36:39], 0 offset:56 ; 4-byte Folded Spill
	s_nop 0
	buffer_store_dword v5, off, s[36:39], 0 offset:60 ; 4-byte Folded Spill
	buffer_store_dword v14, off, s[36:39], 0 offset:248 ; 4-byte Folded Spill
	s_nop 0
	buffer_store_dword v15, off, s[36:39], 0 offset:252 ; 4-byte Folded Spill
	buffer_store_dword v16, off, s[36:39], 0 offset:256 ; 4-byte Folded Spill
	;; [unrolled: 1-line block ×3, first 2 shown]
	v_fma_f64 v[2:3], -v[6:7], v[46:47], v[2:3]
	v_add_f64 v[6:7], v[8:9], v[50:51]
	buffer_store_dword v48, off, s[36:39], 0 offset:184 ; 4-byte Folded Spill
	s_nop 0
	buffer_store_dword v49, off, s[36:39], 0 offset:188 ; 4-byte Folded Spill
	buffer_store_dword v50, off, s[36:39], 0 offset:192 ; 4-byte Folded Spill
	;; [unrolled: 1-line block ×3, first 2 shown]
	v_mov_b32_e32 v11, v7
	v_mov_b32_e32 v10, v6
	v_add_f64 v[57:58], v[14:15], v[16:17]
	v_fma_f64 v[0:1], -v[4:5], v[38:39], v[0:1]
	v_add_f64 v[4:5], v[29:30], v[59:60]
	buffer_store_dword v4, off, s[36:39], 0 offset:64 ; 4-byte Folded Spill
	s_nop 0
	buffer_store_dword v5, off, s[36:39], 0 offset:68 ; 4-byte Folded Spill
	buffer_store_dword v24, off, s[36:39], 0 offset:168 ; 4-byte Folded Spill
	s_nop 0
	buffer_store_dword v25, off, s[36:39], 0 offset:172 ; 4-byte Folded Spill
	buffer_store_dword v26, off, s[36:39], 0 offset:176 ; 4-byte Folded Spill
	;; [unrolled: 1-line block ×3, first 2 shown]
	v_fma_f64 v[0:1], v[6:7], v[4:5], v[0:1]
	v_add_f64 v[4:5], v[31:32], v[21:22]
	v_mov_b32_e32 v20, v31
	v_mov_b32_e32 v21, v32
	;; [unrolled: 1-line block ×4, first 2 shown]
	buffer_store_dword v20, off, s[36:39], 0 offset:216 ; 4-byte Folded Spill
	s_nop 0
	buffer_store_dword v21, off, s[36:39], 0 offset:220 ; 4-byte Folded Spill
	buffer_store_dword v22, off, s[36:39], 0 offset:224 ; 4-byte Folded Spill
	;; [unrolled: 1-line block ×3, first 2 shown]
	v_mul_f64 v[32:33], v[0:1], s[0:1]
	v_fma_f64 v[2:3], v[40:41], v[4:5], v[2:3]
	s_waitcnt lgkmcnt(0)
	v_mov_b32_e32 v0, s17
	v_mul_f64 v[34:35], v[2:3], s[0:1]
	v_lshlrev_b64 v[1:2], 3, v[61:62]
	buffer_store_dword v1, off, s[36:39], 0 offset:16 ; 4-byte Folded Spill
	s_nop 0
	buffer_store_dword v2, off, s[36:39], 0 offset:20 ; 4-byte Folded Spill
	v_add_f64 v[29:30], v[20:21], v[22:23]
	v_add_co_u32_e32 v61, vcc, s16, v1
	v_addc_co_u32_e32 v62, vcc, v0, v2, vcc
	global_store_dwordx4 v[61:62], v[32:35], off
	buffer_load_dword v22, off, s[36:39], 0 offset:272 ; 4-byte Folded Reload
	buffer_load_dword v23, off, s[36:39], 0 offset:276 ; 4-byte Folded Reload
	buffer_load_dword v59, off, s[36:39], 0 ; 4-byte Folded Reload
	buffer_load_dword v60, off, s[36:39], 0 offset:4 ; 4-byte Folded Reload
	buffer_load_dword v18, off, s[36:39], 0 offset:40 ; 4-byte Folded Reload
	;; [unrolled: 1-line block ×9, first 2 shown]
	v_add_f64 v[0:1], v[48:49], v[50:51]
	v_mov_b32_e32 v51, v11
	v_mov_b32_e32 v50, v10
	s_waitcnt vmcnt(10)
	v_mul_f64 v[2:3], v[57:58], v[22:23]
	s_waitcnt vmcnt(6)
	v_mul_f64 v[6:7], v[18:19], v[29:30]
	v_fma_f64 v[2:3], v[59:60], v[29:30], -v[2:3]
	s_waitcnt vmcnt(4)
	v_fma_f64 v[6:7], v[57:58], v[20:21], -v[6:7]
	v_fma_f64 v[32:33], v[12:13], v[38:39], v[2:3]
	v_add_f64 v[2:3], v[24:25], v[26:27]
	v_mov_b32_e32 v25, v1
	v_mov_b32_e32 v24, v0
	v_fma_f64 v[32:33], -v[10:11], v[4:5], v[32:33]
	s_waitcnt vmcnt(2)
	v_fma_f64 v[34:35], v[8:9], v[2:3], v[6:7]
	buffer_load_dword v6, off, s[36:39], 0 offset:32 ; 4-byte Folded Reload
	buffer_load_dword v7, off, s[36:39], 0 offset:36 ; 4-byte Folded Reload
	;; [unrolled: 1-line block ×8, first 2 shown]
	s_waitcnt vmcnt(8)
	v_fma_f64 v[34:35], -v[0:1], v[14:15], v[34:35]
	s_waitcnt vmcnt(6)
	v_fma_f64 v[32:33], -v[6:7], v[2:3], v[32:33]
	;; [unrolled: 2-line block ×3, first 2 shown]
	v_fma_f64 v[32:33], v[0:1], v[44:45], v[32:33]
	s_waitcnt vmcnt(0)
	v_fma_f64 v[0:1], v[27:28], v[42:43], v[34:35]
	v_mul_f64 v[34:35], v[32:33], s[0:1]
	v_mul_f64 v[32:33], v[0:1], s[0:1]
	global_store_dwordx4 v[61:62], v[32:35], off offset:16
	buffer_store_dword v24, off, s[36:39], 0 offset:288 ; 4-byte Folded Spill
	s_nop 0
	buffer_store_dword v25, off, s[36:39], 0 offset:292 ; 4-byte Folded Spill
	buffer_store_dword v2, off, s[36:39], 0 offset:336 ; 4-byte Folded Spill
	s_nop 0
	buffer_store_dword v3, off, s[36:39], 0 offset:340 ; 4-byte Folded Spill
	;; [unrolled: 3-line block ×3, first 2 shown]
	v_mul_f64 v[0:1], v[24:25], v[16:17]
	v_mul_f64 v[32:33], v[10:11], v[2:3]
	v_mov_b32_e32 v10, v38
	v_mov_b32_e32 v11, v39
	v_fma_f64 v[0:1], v[27:28], v[2:3], -v[0:1]
	v_mov_b32_e32 v2, v20
	v_mov_b32_e32 v3, v21
	v_fma_f64 v[32:33], v[24:25], v[10:11], -v[32:33]
	v_mov_b32_e32 v24, v48
	v_mov_b32_e32 v25, v49
	v_fma_f64 v[0:1], v[8:9], v[20:21], v[0:1]
	v_mov_b32_e32 v21, v9
	v_mov_b32_e32 v20, v8
	;; [unrolled: 1-line block ×4, first 2 shown]
	buffer_store_dword v8, off, s[36:39], 0 offset:352 ; 4-byte Folded Spill
	s_nop 0
	buffer_store_dword v9, off, s[36:39], 0 offset:356 ; 4-byte Folded Spill
	v_mov_b32_e32 v31, v5
	v_mov_b32_e32 v30, v4
	v_fma_f64 v[0:1], -v[18:19], v[14:15], v[0:1]
	v_fma_f64 v[32:33], v[12:13], v[8:9], v[32:33]
	buffer_store_dword v12, off, s[36:39], 0 offset:328 ; 4-byte Folded Spill
	s_nop 0
	buffer_store_dword v13, off, s[36:39], 0 offset:332 ; 4-byte Folded Spill
	buffer_store_dword v57, off, s[36:39], 0 offset:296 ; 4-byte Folded Spill
	s_nop 0
	buffer_store_dword v58, off, s[36:39], 0 offset:300 ; 4-byte Folded Spill
	v_fma_f64 v[0:1], -v[24:25], v[8:9], v[0:1]
	v_mov_b32_e32 v8, v22
	v_mov_b32_e32 v9, v23
	;; [unrolled: 1-line block ×4, first 2 shown]
	v_fma_f64 v[32:33], -v[57:58], v[4:5], v[32:33]
	v_fma_f64 v[0:1], v[57:58], v[42:43], v[0:1]
	v_mov_b32_e32 v4, v38
	v_mov_b32_e32 v5, v39
	v_fma_f64 v[32:33], -v[6:7], v[8:9], v[32:33]
	v_fma_f64 v[34:35], v[59:60], v[44:45], v[32:33]
	v_mul_f64 v[32:33], v[0:1], s[0:1]
	v_mul_f64 v[34:35], v[34:35], s[0:1]
	global_store_dwordx4 v[61:62], v[32:35], off offset:32
	buffer_store_dword v22, off, s[36:39], 0 offset:320 ; 4-byte Folded Spill
	s_nop 0
	buffer_store_dword v23, off, s[36:39], 0 offset:324 ; 4-byte Folded Spill
	v_mul_f64 v[32:33], v[27:28], v[46:47]
	buffer_load_dword v28, off, s[36:39], 0 offset:280 ; 4-byte Folded Reload
	buffer_load_dword v29, off, s[36:39], 0 offset:284 ; 4-byte Folded Reload
	v_mov_b32_e32 v26, v46
	v_mov_b32_e32 v27, v47
	v_mul_f64 v[0:1], v[22:23], v[10:11]
	v_fma_f64 v[32:33], v[22:23], v[16:17], -v[32:33]
	v_mov_b32_e32 v23, v17
	v_mov_b32_e32 v22, v16
	;; [unrolled: 1-line block ×4, first 2 shown]
	v_fma_f64 v[0:1], v[50:51], v[46:47], -v[0:1]
	s_waitcnt vmcnt(0)
	v_fma_f64 v[32:33], v[6:7], v[28:29], v[32:33]
	v_fma_f64 v[0:1], v[24:25], v[8:9], v[0:1]
	v_fma_f64 v[0:1], -v[59:60], v[42:43], v[0:1]
	buffer_store_dword v42, off, s[36:39], 0 offset:360 ; 4-byte Folded Spill
	s_nop 0
	buffer_store_dword v43, off, s[36:39], 0 offset:364 ; 4-byte Folded Spill
	buffer_load_dword v6, off, s[36:39], 0 offset:8 ; 4-byte Folded Reload
	buffer_load_dword v7, off, s[36:39], 0 offset:12 ; 4-byte Folded Reload
	v_mov_b32_e32 v60, v29
	v_mov_b32_e32 v59, v28
	v_fma_f64 v[0:1], -v[20:21], v[28:29], v[0:1]
	s_waitcnt vmcnt(0)
	v_fma_f64 v[32:33], -v[6:7], v[44:45], v[32:33]
	v_fma_f64 v[0:1], v[6:7], v[14:15], v[0:1]
	v_mov_b32_e32 v15, v5
	v_mov_b32_e32 v14, v4
	v_fma_f64 v[32:33], -v[12:13], v[2:3], v[32:33]
	v_fma_f64 v[34:35], v[18:19], v[30:31], v[32:33]
	v_mul_f64 v[32:33], v[0:1], s[0:1]
	v_mov_b32_e32 v1, s31
	v_mov_b32_e32 v19, v17
	;; [unrolled: 1-line block ×3, first 2 shown]
	v_mul_f64 v[34:35], v[34:35], s[0:1]
	global_store_dwordx4 v[61:62], v[32:35], off offset:48
	buffer_load_dword v6, off, s[36:39], 0 offset:232 ; 4-byte Folded Reload
	buffer_load_dword v7, off, s[36:39], 0 offset:236 ; 4-byte Folded Reload
	;; [unrolled: 1-line block ×4, first 2 shown]
	s_waitcnt vmcnt(3)
	v_add_co_u32_e32 v0, vcc, s30, v6
	s_waitcnt vmcnt(2)
	v_addc_co_u32_e32 v1, vcc, v1, v7, vcc
	v_mov_b32_e32 v6, s31
	s_waitcnt vmcnt(1)
	v_add_co_u32_e32 v44, vcc, s30, v10
	s_waitcnt vmcnt(0)
	v_addc_co_u32_e32 v45, vcc, v6, v11, vcc
	buffer_load_dword v10, off, s[36:39], 0 offset:152 ; 4-byte Folded Reload
	buffer_load_dword v11, off, s[36:39], 0 offset:156 ; 4-byte Folded Reload
	s_waitcnt vmcnt(1)
	v_add_co_u32_e32 v32, vcc, s30, v10
	s_waitcnt vmcnt(0)
	v_addc_co_u32_e32 v33, vcc, v6, v11, vcc
	buffer_load_dword v10, off, s[36:39], 0 offset:136 ; 4-byte Folded Reload
	buffer_load_dword v11, off, s[36:39], 0 offset:140 ; 4-byte Folded Reload
	;; [unrolled: 6-line block ×3, first 2 shown]
	v_add_co_u32_e32 v38, vcc, s30, v55
	v_addc_co_u32_e32 v39, vcc, v6, v56, vcc
	v_add_co_u32_e32 v53, vcc, s30, v53
	v_addc_co_u32_e32 v54, vcc, v6, v54, vcc
	s_waitcnt vmcnt(1)
	v_add_co_u32_e32 v55, vcc, s30, v10
	s_waitcnt vmcnt(0)
	v_addc_co_u32_e32 v56, vcc, v6, v11, vcc
	global_load_dwordx2 v[10:11], v[32:33], off
	global_load_dwordx2 v[12:13], v[34:35], off
	s_waitcnt vmcnt(1)
	buffer_store_dword v10, off, s[36:39], 0 offset:136 ; 4-byte Folded Spill
	s_nop 0
	buffer_store_dword v11, off, s[36:39], 0 offset:140 ; 4-byte Folded Spill
	s_waitcnt vmcnt(2)
	buffer_store_dword v12, off, s[36:39], 0 offset:144 ; 4-byte Folded Spill
	buffer_store_dword v13, off, s[36:39], 0 offset:148 ; 4-byte Folded Spill
	global_load_dwordx2 v[32:33], v[38:39], off
	global_load_dwordx2 v[34:35], v[53:54], off
	v_add_co_u32_e32 v36, vcc, s30, v36
	v_addc_co_u32_e32 v37, vcc, v6, v37, vcc
	s_waitcnt vmcnt(1)
	buffer_store_dword v32, off, s[36:39], 0 offset:152 ; 4-byte Folded Spill
	s_nop 0
	buffer_store_dword v33, off, s[36:39], 0 offset:156 ; 4-byte Folded Spill
	s_waitcnt vmcnt(2)
	buffer_store_dword v34, off, s[36:39], 0 offset:160 ; 4-byte Folded Spill
	buffer_store_dword v35, off, s[36:39], 0 offset:164 ; 4-byte Folded Spill
	global_load_dwordx2 v[46:47], v[44:45], off
	s_nop 0
	global_load_dwordx2 v[44:45], v[0:1], off
	global_load_dwordx2 v[38:39], v[36:37], off
	s_nop 0
	global_load_dwordx2 v[36:37], v[55:56], off
	v_add_f64 v[57:58], v[10:11], v[12:13]
	v_mul_f64 v[53:54], v[57:58], v[8:9]
	v_add_f64 v[48:49], v[32:33], v[34:35]
	s_waitcnt vmcnt(3)
	v_add_f64 v[20:21], v[46:47], v[10:11]
	v_add_f64 v[50:51], v[46:47], v[34:35]
	s_waitcnt vmcnt(2)
	v_add_f64 v[40:41], v[44:45], v[12:13]
	s_waitcnt vmcnt(0)
	v_add_f64 v[28:29], v[34:35], v[36:37]
	v_add_f64 v[0:1], v[12:13], v[38:39]
	;; [unrolled: 1-line block ×3, first 2 shown]
	buffer_store_dword v44, off, s[36:39], 0 offset:232 ; 4-byte Folded Spill
	s_nop 0
	buffer_store_dword v45, off, s[36:39], 0 offset:236 ; 4-byte Folded Spill
	buffer_store_dword v46, off, s[36:39], 0 offset:240 ; 4-byte Folded Spill
	buffer_store_dword v47, off, s[36:39], 0 offset:244 ; 4-byte Folded Spill
	v_add_f64 v[61:62], v[32:33], v[38:39]
	v_fma_f64 v[53:54], v[20:21], v[59:60], -v[53:54]
	v_mov_b32_e32 v33, v31
	v_mul_f64 v[55:56], v[40:41], v[59:60]
	v_mov_b32_e32 v32, v30
	v_mov_b32_e32 v5, v1
	;; [unrolled: 1-line block ×5, first 2 shown]
	v_fma_f64 v[53:54], -v[50:51], v[26:27], v[53:54]
	v_mov_b32_e32 v34, v26
	v_fma_f64 v[55:56], v[57:58], v[2:3], -v[55:56]
	v_fma_f64 v[53:54], v[48:49], v[42:43], v[53:54]
	v_add_f64 v[42:43], v[10:11], v[36:37]
	v_mov_b32_e32 v10, v22
	v_mov_b32_e32 v11, v23
	buffer_store_dword v36, off, s[36:39], 0 offset:200 ; 4-byte Folded Spill
	s_nop 0
	buffer_store_dword v37, off, s[36:39], 0 offset:204 ; 4-byte Folded Spill
	buffer_store_dword v38, off, s[36:39], 0 offset:208 ; 4-byte Folded Spill
	;; [unrolled: 1-line block ×3, first 2 shown]
	v_fma_f64 v[53:54], v[0:1], v[14:15], v[53:54]
	v_fma_f64 v[55:56], -v[42:43], v[10:11], v[55:56]
	buffer_load_dword v0, off, s[36:39], 0 offset:64 ; 4-byte Folded Reload
	buffer_load_dword v1, off, s[36:39], 0 offset:68 ; 4-byte Folded Reload
	v_fma_f64 v[22:23], v[28:29], v[18:19], v[55:56]
	v_fma_f64 v[22:23], v[24:25], v[26:27], v[22:23]
	v_fma_f64 v[22:23], -v[48:49], v[32:33], v[22:23]
	v_mul_f64 v[55:56], v[22:23], s[0:1]
	buffer_load_dword v22, off, s[36:39], 0 offset:16 ; 4-byte Folded Reload
	buffer_load_dword v23, off, s[36:39], 0 offset:20 ; 4-byte Folded Reload
	v_add_f64 v[26:27], v[44:45], v[46:47]
	v_mov_b32_e32 v45, v9
	v_mov_b32_e32 v44, v8
	v_add_f64 v[6:7], v[36:37], v[38:39]
	v_mov_b32_e32 v37, v29
	v_mov_b32_e32 v36, v28
	;; [unrolled: 1-line block ×4, first 2 shown]
	s_waitcnt vmcnt(2)
	v_fma_f64 v[53:54], -v[61:62], v[0:1], v[53:54]
	v_mul_f64 v[53:54], v[53:54], s[0:1]
	s_waitcnt vmcnt(1)
	v_add_co_u32_e32 v22, vcc, s18, v22
	s_waitcnt vmcnt(0)
	v_addc_co_u32_e32 v23, vcc, v12, v23, vcc
	global_store_dwordx4 v[22:23], v[53:56], off
	buffer_load_dword v16, off, s[36:39], 0 offset:352 ; 4-byte Folded Reload
	buffer_load_dword v17, off, s[36:39], 0 offset:356 ; 4-byte Folded Reload
	v_mov_b32_e32 v13, v3
	v_mov_b32_e32 v12, v2
	buffer_load_dword v2, off, s[36:39], 0 offset:336 ; 4-byte Folded Reload
	buffer_load_dword v3, off, s[36:39], 0 offset:340 ; 4-byte Folded Reload
	v_mul_f64 v[53:54], v[26:27], v[12:13]
	s_waitcnt vmcnt(2)
	v_mul_f64 v[30:31], v[20:21], v[16:17]
	v_fma_f64 v[53:54], v[40:41], v[16:17], -v[53:54]
	v_fma_f64 v[30:31], v[26:27], v[8:9], -v[30:31]
	buffer_load_dword v8, off, s[36:39], 0 offset:360 ; 4-byte Folded Reload
	buffer_load_dword v9, off, s[36:39], 0 offset:364 ; 4-byte Folded Reload
	s_waitcnt vmcnt(2)
	v_fma_f64 v[53:54], -v[4:5], v[2:3], v[53:54]
	v_fma_f64 v[30:31], -v[24:25], v[14:15], v[30:31]
	v_fma_f64 v[53:54], v[6:7], v[0:1], v[53:54]
	v_fma_f64 v[30:31], v[61:62], v[32:33], v[30:31]
	;; [unrolled: 1-line block ×4, first 2 shown]
	v_fma_f64 v[30:31], -v[6:7], v[18:19], v[30:31]
	v_mul_f64 v[55:56], v[30:31], s[0:1]
	v_mul_f64 v[30:31], v[6:7], v[14:15]
	v_fma_f64 v[30:31], v[61:62], v[2:3], -v[30:31]
	v_mul_f64 v[2:3], v[36:37], v[2:3]
	v_fma_f64 v[30:31], -v[24:25], v[16:17], v[30:31]
	v_fma_f64 v[2:3], v[6:7], v[10:11], -v[2:3]
	s_waitcnt vmcnt(0)
	v_fma_f64 v[53:54], -v[36:37], v[8:9], v[53:54]
	v_mul_f64 v[53:54], v[53:54], s[0:1]
	global_store_dwordx4 v[22:23], v[53:56], off offset:16
	s_nop 0
	v_mov_b32_e32 v54, v11
	v_mov_b32_e32 v53, v10
	;; [unrolled: 1-line block ×4, first 2 shown]
	v_fma_f64 v[2:3], -v[4:5], v[10:11], v[2:3]
	v_fma_f64 v[4:5], v[26:27], v[32:33], v[30:31]
	v_fma_f64 v[2:3], v[40:41], v[0:1], v[2:3]
	;; [unrolled: 1-line block ×4, first 2 shown]
	v_fma_f64 v[4:5], -v[20:21], v[18:19], v[4:5]
	v_mov_b32_e32 v16, v42
	v_mov_b32_e32 v17, v43
	;; [unrolled: 1-line block ×4, first 2 shown]
	v_fma_f64 v[2:3], -v[26:27], v[8:9], v[2:3]
	v_mul_f64 v[4:5], v[4:5], s[0:1]
	v_mul_f64 v[2:3], v[2:3], s[0:1]
	global_store_dwordx4 v[22:23], v[2:5], off offset:32
	s_nop 0
	v_mul_f64 v[2:3], v[61:62], v[34:35]
	v_mul_f64 v[4:5], v[42:43], v[53:54]
	v_fma_f64 v[2:3], v[42:43], v[14:15], -v[2:3]
	v_fma_f64 v[4:5], v[36:37], v[34:35], -v[4:5]
	v_fma_f64 v[2:3], -v[50:51], v[44:45], v[2:3]
	v_fma_f64 v[4:5], -v[16:17], v[59:60], v[4:5]
	v_fma_f64 v[2:3], v[20:21], v[8:9], v[2:3]
	v_fma_f64 v[4:5], v[57:58], v[18:19], v[4:5]
	;; [unrolled: 1-line block ×4, first 2 shown]
	v_fma_f64 v[2:3], -v[57:58], v[0:1], v[2:3]
	v_fma_f64 v[4:5], -v[40:41], v[32:33], v[4:5]
	v_mul_f64 v[2:3], v[2:3], s[0:1]
	v_mul_f64 v[4:5], v[4:5], s[0:1]
	global_store_dwordx4 v[22:23], v[2:5], off offset:48
	buffer_load_dword v53, off, s[36:39], 0 ; 4-byte Folded Reload
	buffer_load_dword v54, off, s[36:39], 0 offset:4 ; 4-byte Folded Reload
	buffer_load_dword v10, off, s[36:39], 0 offset:296 ; 4-byte Folded Reload
	;; [unrolled: 1-line block ×13, first 2 shown]
	s_waitcnt vmcnt(12)
	v_mul_f64 v[2:3], v[26:27], v[53:54]
	s_waitcnt vmcnt(10)
	v_mul_f64 v[4:5], v[40:41], v[10:11]
	v_fma_f64 v[2:3], v[20:21], v[10:11], -v[2:3]
	s_waitcnt vmcnt(4)
	v_fma_f64 v[4:5], v[26:27], v[28:29], -v[4:5]
	v_fma_f64 v[2:3], -v[61:62], v[14:15], v[2:3]
	s_waitcnt vmcnt(0)
	v_fma_f64 v[4:5], -v[6:7], v[30:31], v[4:5]
	v_fma_f64 v[2:3], v[24:25], v[32:33], v[2:3]
	v_fma_f64 v[44:45], v[6:7], v[48:49], v[2:3]
	buffer_load_dword v2, off, s[36:39], 0 offset:288 ; 4-byte Folded Reload
	buffer_load_dword v3, off, s[36:39], 0 offset:292 ; 4-byte Folded Reload
	;; [unrolled: 1-line block ×10, first 2 shown]
	s_waitcnt vmcnt(8)
	v_mul_f64 v[22:23], v[61:62], v[2:3]
	s_waitcnt vmcnt(6)
	v_mul_f64 v[0:1], v[6:7], v[12:13]
	v_fma_f64 v[4:5], v[38:39], v[2:3], v[4:5]
	s_waitcnt vmcnt(0)
	v_mov_b32_e32 v56, v9
	v_mov_b32_e32 v55, v8
	v_fma_f64 v[22:23], v[6:7], v[32:33], -v[22:23]
	v_fma_f64 v[0:1], v[36:37], v[2:3], -v[0:1]
	v_fma_f64 v[4:5], v[36:37], v[59:60], v[4:5]
	v_fma_f64 v[6:7], -v[26:27], v[14:15], v[22:23]
	v_mul_f64 v[22:23], v[20:21], v[18:19]
	v_fma_f64 v[0:1], -v[40:41], v[30:31], v[0:1]
	v_fma_f64 v[6:7], v[24:25], v[10:11], v[6:7]
	v_fma_f64 v[22:23], v[57:58], v[53:54], -v[22:23]
	v_fma_f64 v[0:1], v[38:39], v[28:29], v[0:1]
	v_fma_f64 v[6:7], v[20:21], v[48:49], v[6:7]
	v_fma_f64 v[22:23], -v[42:43], v[59:60], v[22:23]
	v_fma_f64 v[34:35], v[26:27], v[59:60], v[0:1]
	v_mov_b32_e32 v0, v30
	v_mov_b32_e32 v1, v31
	v_fma_f64 v[6:7], -v[16:17], v[53:54], v[6:7]
	v_fma_f64 v[22:23], v[50:51], v[8:9], v[22:23]
	v_fma_f64 v[22:23], v[61:62], v[30:31], v[22:23]
	v_mul_f64 v[30:31], v[42:43], v[32:33]
	v_fma_f64 v[26:27], v[61:62], v[8:9], -v[30:31]
	v_mul_f64 v[30:31], v[57:58], v[28:29]
	v_mul_f64 v[8:9], v[36:37], v[55:56]
	v_mov_b32_e32 v62, v19
	v_mov_b32_e32 v61, v18
	v_fma_f64 v[26:27], -v[20:21], v[59:60], v[26:27]
	v_fma_f64 v[30:31], v[40:41], v[18:19], -v[30:31]
	v_fma_f64 v[8:9], v[42:43], v[12:13], -v[8:9]
	v_fma_f64 v[20:21], -v[50:51], v[12:13], v[4:5]
	v_fma_f64 v[18:19], -v[16:17], v[2:3], v[44:45]
	v_fma_f64 v[26:27], v[50:51], v[53:54], v[26:27]
	v_fma_f64 v[30:31], -v[36:37], v[48:49], v[30:31]
	v_fma_f64 v[8:9], -v[57:58], v[48:49], v[8:9]
	v_ashrrev_i32_e32 v53, 31, v52
	v_fma_f64 v[26:27], v[57:58], v[0:1], v[26:27]
	v_fma_f64 v[4:5], v[16:17], v[12:13], v[30:31]
	v_mov_b32_e32 v12, v61
	v_mov_b32_e32 v13, v62
	v_fma_f64 v[2:3], v[16:17], v[12:13], v[8:9]
	v_mov_b32_e32 v16, v38
	v_mov_b32_e32 v17, v39
	v_fma_f64 v[8:9], -v[16:17], v[32:33], v[22:23]
	v_fma_f64 v[0:1], -v[50:51], v[10:11], v[34:35]
	v_fma_f64 v[4:5], v[42:43], v[14:15], v[4:5]
	v_fma_f64 v[10:11], -v[16:17], v[12:13], v[26:27]
	v_fma_f64 v[2:3], v[40:41], v[14:15], v[2:3]
	buffer_load_dword v14, off, s[36:39], 0 offset:16 ; 4-byte Folded Reload
	buffer_load_dword v15, off, s[36:39], 0 offset:20 ; 4-byte Folded Reload
	v_fma_f64 v[4:5], -v[24:25], v[55:56], v[4:5]
	v_fma_f64 v[12:13], -v[24:25], v[28:29], v[2:3]
	v_mul_f64 v[2:3], v[8:9], s[0:1]
	v_mov_b32_e32 v9, s21
	v_mul_f64 v[4:5], v[4:5], s[0:1]
	s_waitcnt vmcnt(1)
	v_add_co_u32_e32 v8, vcc, s20, v14
	s_waitcnt vmcnt(0)
	v_addc_co_u32_e32 v9, vcc, v9, v15, vcc
	global_store_dwordx4 v[8:9], v[2:5], off
	s_nop 0
	v_mul_f64 v[4:5], v[18:19], s[0:1]
	v_mul_f64 v[2:3], v[20:21], s[0:1]
	global_store_dwordx4 v[8:9], v[2:5], off offset:16
	s_nop 0
	v_mul_f64 v[2:3], v[0:1], s[0:1]
	v_mul_f64 v[4:5], v[6:7], s[0:1]
	v_mov_b32_e32 v1, s23
	v_add_co_u32_e32 v0, vcc, s22, v14
	v_addc_co_u32_e32 v1, vcc, v1, v15, vcc
	global_store_dwordx4 v[8:9], v[2:5], off offset:32
	s_nop 0
	v_mul_f64 v[2:3], v[10:11], s[0:1]
	v_mul_f64 v[4:5], v[12:13], s[0:1]
	s_load_dwordx2 s[0:1], s[4:5], 0x60
	s_waitcnt lgkmcnt(0)
	v_mov_b32_e32 v7, s1
	global_store_dwordx4 v[8:9], v[2:5], off offset:48
	s_nop 0
	v_lshlrev_b64 v[2:3], 3, v[52:53]
	v_mov_b32_e32 v5, s15
	v_add_co_u32_e32 v4, vcc, s14, v2
	v_addc_co_u32_e32 v5, vcc, v5, v3, vcc
	v_add_co_u32_e32 v6, vcc, s0, v2
	v_addc_co_u32_e32 v7, vcc, v7, v3, vcc
	global_load_dwordx2 v[4:5], v[4:5], off
	s_nop 0
	global_load_dwordx2 v[6:7], v[6:7], off
	s_nop 0
	buffer_load_dword v8, off, s[36:39], 0 offset:232 ; 4-byte Folded Reload
	buffer_load_dword v9, off, s[36:39], 0 offset:236 ; 4-byte Folded Reload
	;; [unrolled: 1-line block ×4, first 2 shown]
	v_add_co_u32_e64 v2, s[0:1], s28, v2
	s_waitcnt vmcnt(0)
	global_store_dwordx4 v[0:1], v[8:11], off
	buffer_load_dword v10, off, s[36:39], 0 offset:248 ; 4-byte Folded Reload
	s_nop 0
	buffer_load_dword v11, off, s[36:39], 0 offset:252 ; 4-byte Folded Reload
	buffer_load_dword v12, off, s[36:39], 0 offset:256 ; 4-byte Folded Reload
	;; [unrolled: 1-line block ×3, first 2 shown]
	v_mov_b32_e32 v9, s25
	v_add_co_u32_e32 v8, vcc, s24, v14
	v_addc_co_u32_e32 v9, vcc, v9, v15, vcc
	s_waitcnt vmcnt(0)
	global_store_dwordx4 v[8:9], v[10:13], off
	s_nop 0
	v_mov_b32_e32 v11, s27
	v_add_co_u32_e32 v10, vcc, s26, v14
	v_addc_co_u32_e32 v11, vcc, v11, v15, vcc
	buffer_load_dword v12, off, s[36:39], 0 offset:216 ; 4-byte Folded Reload
	buffer_load_dword v13, off, s[36:39], 0 offset:220 ; 4-byte Folded Reload
	;; [unrolled: 1-line block ×4, first 2 shown]
	v_cmp_ge_f64_e32 vcc, 0, v[6:7]
	s_waitcnt vmcnt(0)
	global_store_dwordx4 v[10:11], v[12:15], off
	buffer_load_dword v12, off, s[36:39], 0 offset:136 ; 4-byte Folded Reload
	s_nop 0
	buffer_load_dword v13, off, s[36:39], 0 offset:140 ; 4-byte Folded Reload
	buffer_load_dword v14, off, s[36:39], 0 offset:144 ; 4-byte Folded Reload
	buffer_load_dword v15, off, s[36:39], 0 offset:148 ; 4-byte Folded Reload
	s_waitcnt vmcnt(0)
	global_store_dwordx4 v[0:1], v[12:15], off offset:16
	buffer_load_dword v12, off, s[36:39], 0 offset:72 ; 4-byte Folded Reload
	s_nop 0
	buffer_load_dword v13, off, s[36:39], 0 offset:76 ; 4-byte Folded Reload
	buffer_load_dword v14, off, s[36:39], 0 offset:80 ; 4-byte Folded Reload
	buffer_load_dword v15, off, s[36:39], 0 offset:84 ; 4-byte Folded Reload
	s_waitcnt vmcnt(0)
	global_store_dwordx4 v[8:9], v[12:15], off offset:16
	;; [unrolled: 7-line block ×7, first 2 shown]
	buffer_load_dword v12, off, s[36:39], 0 offset:184 ; 4-byte Folded Reload
	s_nop 0
	buffer_load_dword v13, off, s[36:39], 0 offset:188 ; 4-byte Folded Reload
	buffer_load_dword v14, off, s[36:39], 0 offset:192 ; 4-byte Folded Reload
	;; [unrolled: 1-line block ×3, first 2 shown]
	v_mul_f64 v[0:1], v[4:5], v[6:7]
	s_waitcnt vmcnt(0)
	global_store_dwordx4 v[8:9], v[12:15], off offset:48
	buffer_load_dword v4, off, s[36:39], 0 offset:168 ; 4-byte Folded Reload
	buffer_load_dword v5, off, s[36:39], 0 offset:172 ; 4-byte Folded Reload
	;; [unrolled: 1-line block ×4, first 2 shown]
	s_waitcnt vmcnt(0)
	global_store_dwordx4 v[10:11], v[4:7], off offset:48
	s_nop 0
	v_mov_b32_e32 v4, s29
	v_addc_co_u32_e64 v3, s[0:1], v4, v3, s[0:1]
	global_store_dwordx2 v[2:3], v[0:1], off
	s_and_b64 exec, exec, vcc
	s_cbranch_execz .LBB3_3
; %bb.2:
	s_load_dwordx2 s[0:1], s[4:5], 0x68
	v_mov_b32_e32 v0, 0
	s_waitcnt lgkmcnt(0)
	global_store_dword v0, v52, s[0:1]
.LBB3_3:
	s_endpgm
	.section	.rodata,"a",@progbits
	.p2align	6, 0x0
	.amdhsa_kernel _Z3hgcPdS_S_S_S_S_S_PKdS1_S1_PKiS1_S1_Pii
		.amdhsa_group_segment_fixed_size 0
		.amdhsa_private_segment_fixed_size 372
		.amdhsa_kernarg_size 376
		.amdhsa_user_sgpr_count 6
		.amdhsa_user_sgpr_private_segment_buffer 1
		.amdhsa_user_sgpr_dispatch_ptr 0
		.amdhsa_user_sgpr_queue_ptr 0
		.amdhsa_user_sgpr_kernarg_segment_ptr 1
		.amdhsa_user_sgpr_dispatch_id 0
		.amdhsa_user_sgpr_flat_scratch_init 0
		.amdhsa_user_sgpr_private_segment_size 0
		.amdhsa_uses_dynamic_stack 0
		.amdhsa_system_sgpr_private_segment_wavefront_offset 1
		.amdhsa_system_sgpr_workgroup_id_x 1
		.amdhsa_system_sgpr_workgroup_id_y 0
		.amdhsa_system_sgpr_workgroup_id_z 0
		.amdhsa_system_sgpr_workgroup_info 0
		.amdhsa_system_vgpr_workitem_id 0
		.amdhsa_next_free_vgpr 63
		.amdhsa_next_free_sgpr 40
		.amdhsa_reserve_vcc 1
		.amdhsa_reserve_flat_scratch 0
		.amdhsa_float_round_mode_32 0
		.amdhsa_float_round_mode_16_64 0
		.amdhsa_float_denorm_mode_32 3
		.amdhsa_float_denorm_mode_16_64 3
		.amdhsa_dx10_clamp 1
		.amdhsa_ieee_mode 1
		.amdhsa_fp16_overflow 0
		.amdhsa_exception_fp_ieee_invalid_op 0
		.amdhsa_exception_fp_denorm_src 0
		.amdhsa_exception_fp_ieee_div_zero 0
		.amdhsa_exception_fp_ieee_overflow 0
		.amdhsa_exception_fp_ieee_underflow 0
		.amdhsa_exception_fp_ieee_inexact 0
		.amdhsa_exception_int_div_zero 0
	.end_amdhsa_kernel
	.text
.Lfunc_end3:
	.size	_Z3hgcPdS_S_S_S_S_S_PKdS1_S1_PKiS1_S1_Pii, .Lfunc_end3-_Z3hgcPdS_S_S_S_S_S_PKdS1_S1_PKiS1_S1_Pii
                                        ; -- End function
	.set _Z3hgcPdS_S_S_S_S_S_PKdS1_S1_PKiS1_S1_Pii.num_vgpr, 63
	.set _Z3hgcPdS_S_S_S_S_S_PKdS1_S1_PKiS1_S1_Pii.num_agpr, 0
	.set _Z3hgcPdS_S_S_S_S_S_PKdS1_S1_PKiS1_S1_Pii.numbered_sgpr, 40
	.set _Z3hgcPdS_S_S_S_S_S_PKdS1_S1_PKiS1_S1_Pii.num_named_barrier, 0
	.set _Z3hgcPdS_S_S_S_S_S_PKdS1_S1_PKiS1_S1_Pii.private_seg_size, 372
	.set _Z3hgcPdS_S_S_S_S_S_PKdS1_S1_PKiS1_S1_Pii.uses_vcc, 1
	.set _Z3hgcPdS_S_S_S_S_S_PKdS1_S1_PKiS1_S1_Pii.uses_flat_scratch, 0
	.set _Z3hgcPdS_S_S_S_S_S_PKdS1_S1_PKiS1_S1_Pii.has_dyn_sized_stack, 0
	.set _Z3hgcPdS_S_S_S_S_S_PKdS1_S1_PKiS1_S1_Pii.has_recursion, 0
	.set _Z3hgcPdS_S_S_S_S_S_PKdS1_S1_PKiS1_S1_Pii.has_indirect_call, 0
	.section	.AMDGPU.csdata,"",@progbits
; Kernel info:
; codeLenInByte = 5404
; TotalNumSgprs: 44
; NumVgprs: 63
; ScratchSize: 372
; MemoryBound: 0
; FloatMode: 240
; IeeeMode: 1
; LDSByteSize: 0 bytes/workgroup (compile time only)
; SGPRBlocks: 5
; VGPRBlocks: 15
; NumSGPRsForWavesPerEU: 44
; NumVGPRsForWavesPerEU: 63
; Occupancy: 4
; WaveLimiterHint : 1
; COMPUTE_PGM_RSRC2:SCRATCH_EN: 1
; COMPUTE_PGM_RSRC2:USER_SGPR: 6
; COMPUTE_PGM_RSRC2:TRAP_HANDLER: 0
; COMPUTE_PGM_RSRC2:TGID_X_EN: 1
; COMPUTE_PGM_RSRC2:TGID_Y_EN: 0
; COMPUTE_PGM_RSRC2:TGID_Z_EN: 0
; COMPUTE_PGM_RSRC2:TIDIG_COMP_CNT: 0
	.text
	.protected	_Z2fbPKdS0_S0_S0_S0_S0_S0_S0_S0_S0_S0_S0_PKiS0_PdS3_S3_di ; -- Begin function _Z2fbPKdS0_S0_S0_S0_S0_S0_S0_S0_S0_S0_S0_PKiS0_PdS3_S3_di
	.globl	_Z2fbPKdS0_S0_S0_S0_S0_S0_S0_S0_S0_S0_S0_PKiS0_PdS3_S3_di
	.p2align	8
	.type	_Z2fbPKdS0_S0_S0_S0_S0_S0_S0_S0_S0_S0_S0_PKiS0_PdS3_S3_di,@function
_Z2fbPKdS0_S0_S0_S0_S0_S0_S0_S0_S0_S0_S0_PKiS0_PdS3_S3_di: ; @_Z2fbPKdS0_S0_S0_S0_S0_S0_S0_S0_S0_S0_S0_PKiS0_PdS3_S3_di
; %bb.0:
	s_mov_b64 s[94:95], s[2:3]
	s_mov_b64 s[92:93], s[0:1]
	s_load_dword s0, s[4:5], 0xa4
	s_load_dword s1, s[4:5], 0x90
	s_add_u32 s92, s92, s7
	s_addc_u32 s93, s93, 0
	s_waitcnt lgkmcnt(0)
	s_and_b32 s0, s0, 0xffff
	s_mul_i32 s6, s6, s0
	v_add_u32_e32 v0, s6, v0
	v_cmp_gt_i32_e32 vcc, s1, v0
	s_and_saveexec_b64 s[0:1], vcc
	s_cbranch_execz .LBB4_2
; %bb.1:
	v_lshlrev_b32_e32 v1, 3, v0
	v_ashrrev_i32_e32 v2, 31, v1
	buffer_store_dword v1, off, s[92:95], 0 offset:40 ; 4-byte Folded Spill
	s_nop 0
	buffer_store_dword v2, off, s[92:95], 0 offset:44 ; 4-byte Folded Spill
	s_load_dwordx8 s[84:91], s[4:5], 0x20
	s_load_dwordx8 s[24:31], s[4:5], 0x0
	;; [unrolled: 1-line block ×3, first 2 shown]
                                        ; implicit-def: $vgpr62 : SGPR spill to VGPR lane
	s_waitcnt lgkmcnt(0)
	v_mov_b32_e32 v4, s31
	v_mov_b32_e32 v10, s25
	v_mov_b32_e32 v11, s27
	v_lshlrev_b64 v[24:25], 3, v[1:2]
	buffer_store_dword v0, off, s[92:95], 0 offset:48 ; 4-byte Folded Spill
	s_nop 0
	buffer_store_dword v1, off, s[92:95], 0 offset:52 ; 4-byte Folded Spill
	v_mov_b32_e32 v0, s85
	v_add_co_u32_e32 v8, vcc, s84, v24
	v_addc_co_u32_e32 v9, vcc, v0, v25, vcc
	global_load_dwordx4 v[0:3], v[8:9], off
	v_add_co_u32_e32 v31, vcc, s30, v24
	v_addc_co_u32_e32 v32, vcc, v4, v25, vcc
	global_load_dwordx4 v[12:15], v[31:32], off
	global_load_dwordx4 v[20:23], v[8:9], off offset:16
	global_load_dwordx4 v[16:19], v[31:32], off offset:16
	;; [unrolled: 1-line block ×3, first 2 shown]
	s_load_dwordx16 s[68:83], s[54:55], 0x0
	s_load_dwordx16 s[8:23], s[54:55], 0x40
	buffer_store_dword v24, off, s[92:95], 0 offset:32 ; 4-byte Folded Spill
	s_nop 0
	buffer_store_dword v25, off, s[92:95], 0 offset:36 ; 4-byte Folded Spill
	s_load_dwordx16 s[36:51], s[54:55], 0x80
	s_waitcnt lgkmcnt(0)
	v_writelane_b32 v62, s8, 0
	v_writelane_b32 v62, s9, 1
	;; [unrolled: 1-line block ×16, first 2 shown]
	s_waitcnt vmcnt(6)
	v_mul_f64 v[38:39], s[10:11], v[2:3]
	s_load_dwordx16 s[8:23], s[54:55], 0xc0
	v_mul_f64 v[36:37], s[70:71], v[2:3]
	v_mul_f64 v[40:41], s[38:39], v[2:3]
	v_readlane_b32 s52, v62, 0
	v_readlane_b32 s53, v62, 1
	s_waitcnt lgkmcnt(0)
	v_mul_f64 v[2:3], s[10:11], v[2:3]
	v_add_co_u32_e32 v28, vcc, s24, v24
	v_add_co_u32_e64 v34, s[0:1], s26, v24
	v_addc_co_u32_e32 v29, vcc, v10, v25, vcc
	v_addc_co_u32_e64 v35, vcc, v11, v25, s[0:1]
	global_load_dwordx4 v[8:11], v[8:9], off offset:48
	s_nop 0
	global_load_dwordx4 v[24:27], v[31:32], off offset:32
	v_fma_f64 v[36:37], s[68:69], v[0:1], v[36:37]
	v_fma_f64 v[38:39], s[52:53], v[0:1], v[38:39]
	;; [unrolled: 1-line block ×4, first 2 shown]
	v_readlane_b32 s54, v62, 2
	v_readlane_b32 s55, v62, 3
	;; [unrolled: 1-line block ×4, first 2 shown]
	s_waitcnt vmcnt(7)
	v_mul_f64 v[42:43], v[14:15], s[70:71]
	v_mul_f64 v[44:45], v[14:15], s[54:55]
	;; [unrolled: 1-line block ×4, first 2 shown]
	s_waitcnt vmcnt(6)
	v_fma_f64 v[36:37], s[72:73], v[20:21], v[36:37]
	v_fma_f64 v[38:39], s[56:57], v[20:21], v[38:39]
	;; [unrolled: 1-line block ×4, first 2 shown]
	v_readlane_b32 s58, v62, 6
	v_readlane_b32 s59, v62, 7
	v_fma_f64 v[42:43], v[12:13], s[68:69], v[42:43]
	v_fma_f64 v[44:45], v[12:13], s[52:53], v[44:45]
	;; [unrolled: 1-line block ×4, first 2 shown]
	global_load_dwordx4 v[0:3], v[31:32], off offset:48
	v_fma_f64 v[32:33], s[74:75], v[22:23], v[36:37]
	v_fma_f64 v[36:37], s[58:59], v[22:23], v[38:39]
	;; [unrolled: 1-line block ×4, first 2 shown]
	v_readlane_b32 s60, v62, 8
	v_readlane_b32 s61, v62, 9
	s_waitcnt vmcnt(6)
	v_fma_f64 v[30:31], v[16:17], s[72:73], v[42:43]
	global_load_dwordx4 v[12:15], v[34:35], off
	v_fma_f64 v[22:23], v[16:17], s[56:57], v[44:45]
	v_fma_f64 v[40:41], v[16:17], s[40:41], v[46:47]
	;; [unrolled: 1-line block ×3, first 2 shown]
	s_waitcnt vmcnt(6)
	v_fma_f64 v[32:33], s[76:77], v[4:5], v[32:33]
	v_fma_f64 v[36:37], s[60:61], v[4:5], v[36:37]
	;; [unrolled: 1-line block ×4, first 2 shown]
	v_readlane_b32 s62, v62, 10
	v_readlane_b32 s63, v62, 11
	v_fma_f64 v[30:31], v[18:19], s[74:75], v[30:31]
	v_fma_f64 v[20:21], v[18:19], s[58:59], v[22:23]
	;; [unrolled: 1-line block ×8, first 2 shown]
	global_load_dwordx4 v[4:7], v[28:29], off
	v_readlane_b32 s64, v62, 12
	v_readlane_b32 s65, v62, 13
	;; [unrolled: 1-line block ×4, first 2 shown]
	global_load_dwordx4 v[38:41], v[34:35], off offset:16
	s_waitcnt vmcnt(5)
	v_fma_f64 v[18:19], s[80:81], v[8:9], v[18:19]
	s_waitcnt vmcnt(4)
	v_fma_f64 v[30:31], v[24:25], s[76:77], v[30:31]
	v_fma_f64 v[20:21], v[24:25], s[60:61], v[20:21]
	v_fma_f64 v[22:23], v[24:25], s[44:45], v[22:23]
	v_fma_f64 v[16:17], v[24:25], s[16:17], v[16:17]
	v_fma_f64 v[44:45], s[48:49], v[8:9], v[36:37]
	v_fma_f64 v[36:37], s[82:83], v[10:11], v[18:19]
	v_fma_f64 v[24:25], v[26:27], s[78:79], v[30:31]
	v_fma_f64 v[20:21], v[26:27], s[62:63], v[20:21]
	v_fma_f64 v[22:23], v[26:27], s[46:47], v[22:23]
	v_fma_f64 v[16:17], v[26:27], s[18:19], v[16:17]
	v_fma_f64 v[26:27], s[64:65], v[8:9], v[32:33]
	v_fma_f64 v[8:9], s[20:21], v[8:9], v[42:43]
	v_fma_f64 v[31:32], s[66:67], v[10:11], v[26:27]
	v_fma_f64 v[26:27], s[50:51], v[10:11], v[44:45]
	s_waitcnt vmcnt(3)
	v_fma_f64 v[42:43], v[0:1], s[80:81], v[24:25]
	v_fma_f64 v[20:21], v[0:1], s[64:65], v[20:21]
	;; [unrolled: 1-line block ×9, first 2 shown]
	s_waitcnt vmcnt(2)
	v_mul_f64 v[2:3], v[36:37], v[12:13]
	v_mul_f64 v[8:9], v[36:37], v[14:15]
	;; [unrolled: 1-line block ×8, first 2 shown]
	s_waitcnt vmcnt(1)
	v_fma_f64 v[2:3], v[22:23], v[4:5], v[2:3]
	buffer_store_dword v2, off, s[92:95], 0 offset:56 ; 4-byte Folded Spill
	s_nop 0
	buffer_store_dword v3, off, s[92:95], 0 offset:60 ; 4-byte Folded Spill
	v_fma_f64 v[2:3], v[22:23], v[6:7], v[8:9]
	buffer_store_dword v2, off, s[92:95], 0 offset:64 ; 4-byte Folded Spill
	s_nop 0
	buffer_store_dword v3, off, s[92:95], 0 offset:68 ; 4-byte Folded Spill
	;; [unrolled: 4-line block ×8, first 2 shown]
	global_load_dwordx4 v[48:51], v[28:29], off offset:16
	s_waitcnt vmcnt(17)
	v_mul_f64 v[0:1], v[36:37], v[38:39]
	v_mul_f64 v[2:3], v[36:37], v[40:41]
	;; [unrolled: 1-line block ×8, first 2 shown]
	s_waitcnt vmcnt(0)
	v_fma_f64 v[0:1], v[22:23], v[48:49], v[0:1]
	buffer_store_dword v0, off, s[92:95], 0 offset:128 ; 4-byte Folded Spill
	s_nop 0
	buffer_store_dword v1, off, s[92:95], 0 offset:132 ; 4-byte Folded Spill
	v_fma_f64 v[0:1], v[22:23], v[50:51], v[2:3]
	buffer_store_dword v0, off, s[92:95], 0 offset:136 ; 4-byte Folded Spill
	s_nop 0
	buffer_store_dword v1, off, s[92:95], 0 offset:140 ; 4-byte Folded Spill
	;; [unrolled: 4-line block ×8, first 2 shown]
	global_load_dwordx4 v[0:3], v[34:35], off offset:32
	s_nop 0
	global_load_dwordx4 v[48:51], v[28:29], off offset:32
	s_waitcnt vmcnt(1)
	v_mul_f64 v[4:5], v[36:37], v[0:1]
	v_mul_f64 v[6:7], v[36:37], v[2:3]
	;; [unrolled: 1-line block ×8, first 2 shown]
	s_waitcnt vmcnt(0)
	v_fma_f64 v[38:39], v[22:23], v[48:49], v[4:5]
	v_fma_f64 v[40:41], v[22:23], v[50:51], v[6:7]
	;; [unrolled: 1-line block ×8, first 2 shown]
	global_load_dwordx4 v[48:51], v[34:35], off offset:48
	s_waitcnt vmcnt(0)
	v_mul_f64 v[0:1], v[36:37], v[48:49]
	v_mul_f64 v[2:3], v[36:37], v[50:51]
	;; [unrolled: 1-line block ×6, first 2 shown]
	global_load_dwordx4 v[24:27], v[28:29], off offset:48
	v_mul_f64 v[4:5], v[31:32], v[48:49]
	v_mul_f64 v[32:33], v[31:32], v[50:51]
	s_waitcnt vmcnt(0)
	v_fma_f64 v[30:31], v[22:23], v[24:25], v[0:1]
	v_fma_f64 v[22:23], v[22:23], v[26:27], v[2:3]
	buffer_load_dword v2, off, s[92:95], 0 offset:32 ; 4-byte Folded Reload
	buffer_load_dword v3, off, s[92:95], 0 offset:36 ; 4-byte Folded Reload
	v_mov_b32_e32 v1, s87
	v_fma_f64 v[48:49], v[20:21], v[24:25], v[4:5]
	v_fma_f64 v[50:51], v[20:21], v[26:27], v[32:33]
	v_fma_f64 v[54:55], v[16:17], v[24:25], v[34:35]
	v_fma_f64 v[58:59], v[16:17], v[26:27], v[36:37]
	v_fma_f64 v[18:19], v[10:11], v[24:25], v[6:7]
	v_fma_f64 v[14:15], v[10:11], v[26:27], v[8:9]
	s_waitcnt vmcnt(1)
	v_add_co_u32_e32 v0, vcc, s86, v2
	s_waitcnt vmcnt(0)
	v_addc_co_u32_e32 v1, vcc, v1, v3, vcc
	global_load_dwordx4 v[24:27], v[0:1], off
	v_mov_b32_e32 v13, v3
	v_mov_b32_e32 v12, v2
	v_add_co_u32_e32 v12, vcc, s28, v12
	s_waitcnt vmcnt(0)
	v_mul_f64 v[2:3], s[70:71], v[26:27]
	v_mul_f64 v[6:7], s[54:55], v[26:27]
	;; [unrolled: 1-line block ×4, first 2 shown]
	v_fma_f64 v[2:3], s[68:69], v[24:25], v[2:3]
	v_fma_f64 v[6:7], s[52:53], v[24:25], v[6:7]
	v_fma_f64 v[8:9], s[36:37], v[24:25], v[8:9]
	v_fma_f64 v[16:17], s[8:9], v[24:25], v[16:17]
	global_load_dwordx4 v[24:27], v[0:1], off offset:16
	s_waitcnt vmcnt(0)
	v_fma_f64 v[2:3], s[72:73], v[24:25], v[2:3]
	v_fma_f64 v[6:7], s[56:57], v[24:25], v[6:7]
	v_fma_f64 v[8:9], s[40:41], v[24:25], v[8:9]
	v_fma_f64 v[16:17], s[12:13], v[24:25], v[16:17]
	v_fma_f64 v[2:3], s[74:75], v[26:27], v[2:3]
	v_fma_f64 v[6:7], s[58:59], v[26:27], v[6:7]
	v_fma_f64 v[8:9], s[42:43], v[26:27], v[8:9]
	v_fma_f64 v[16:17], s[14:15], v[26:27], v[16:17]
	global_load_dwordx4 v[24:27], v[0:1], off offset:32
	s_waitcnt vmcnt(0)
	v_fma_f64 v[2:3], s[76:77], v[24:25], v[2:3]
	v_fma_f64 v[6:7], s[60:61], v[24:25], v[6:7]
	v_fma_f64 v[8:9], s[44:45], v[24:25], v[8:9]
	v_fma_f64 v[16:17], s[16:17], v[24:25], v[16:17]
	;; [unrolled: 10-line block ×3, first 2 shown]
	v_fma_f64 v[4:5], s[82:83], v[26:27], v[0:1]
	v_mov_b32_e32 v0, s29
	v_addc_co_u32_e32 v13, vcc, v0, v13, vcc
	v_fma_f64 v[6:7], s[66:67], v[26:27], v[2:3]
	v_fma_f64 v[10:11], s[22:23], v[26:27], v[16:17]
	global_load_dwordx4 v[0:3], v[12:13], off
	buffer_load_dword v16, off, s[92:95], 0 offset:56 ; 4-byte Folded Reload
	buffer_load_dword v17, off, s[92:95], 0 offset:60 ; 4-byte Folded Reload
	v_fma_f64 v[8:9], s[50:51], v[26:27], v[20:21]
	s_load_dwordx8 s[24:31], s[4:5], 0x60
	s_waitcnt vmcnt(0)
	v_fma_f64 v[16:17], v[4:5], v[0:1], v[16:17]
	buffer_store_dword v16, off, s[92:95], 0 offset:120 ; 4-byte Folded Spill
	s_nop 0
	buffer_store_dword v17, off, s[92:95], 0 offset:124 ; 4-byte Folded Spill
	buffer_load_dword v16, off, s[92:95], 0 offset:64 ; 4-byte Folded Reload
	s_nop 0
	buffer_load_dword v17, off, s[92:95], 0 offset:68 ; 4-byte Folded Reload
	s_waitcnt vmcnt(0)
	v_fma_f64 v[32:33], v[4:5], v[2:3], v[16:17]
	buffer_load_dword v16, off, s[92:95], 0 offset:72 ; 4-byte Folded Reload
	buffer_load_dword v17, off, s[92:95], 0 offset:76 ; 4-byte Folded Reload
	s_waitcnt vmcnt(0)
	v_fma_f64 v[36:37], v[6:7], v[0:1], v[16:17]
	buffer_load_dword v16, off, s[92:95], 0 offset:80 ; 4-byte Folded Reload
	;; [unrolled: 4-line block ×4, first 2 shown]
	buffer_load_dword v17, off, s[92:95], 0 offset:100 ; 4-byte Folded Reload
	buffer_load_dword v24, off, s[92:95], 0 offset:104 ; 4-byte Folded Reload
	;; [unrolled: 1-line block ×3, first 2 shown]
	s_waitcnt vmcnt(2)
	v_fma_f64 v[16:17], v[8:9], v[2:3], v[16:17]
	s_waitcnt vmcnt(0)
	v_fma_f64 v[24:25], v[10:11], v[0:1], v[24:25]
	buffer_load_dword v0, off, s[92:95], 0 offset:112 ; 4-byte Folded Reload
	buffer_load_dword v1, off, s[92:95], 0 offset:116 ; 4-byte Folded Reload
	s_waitcnt vmcnt(0)
	v_fma_f64 v[34:35], v[10:11], v[2:3], v[0:1]
	global_load_dwordx4 v[0:3], v[12:13], off offset:16
	buffer_load_dword v28, off, s[92:95], 0 offset:128 ; 4-byte Folded Reload
	buffer_load_dword v29, off, s[92:95], 0 offset:132 ; 4-byte Folded Reload
	s_waitcnt vmcnt(0)
	v_fma_f64 v[28:29], v[4:5], v[0:1], v[28:29]
	buffer_store_dword v28, off, s[92:95], 0 offset:56 ; 4-byte Folded Spill
	s_nop 0
	buffer_store_dword v29, off, s[92:95], 0 offset:60 ; 4-byte Folded Spill
	buffer_load_dword v28, off, s[92:95], 0 offset:136 ; 4-byte Folded Reload
	s_nop 0
	buffer_load_dword v29, off, s[92:95], 0 offset:140 ; 4-byte Folded Reload
	s_waitcnt vmcnt(0)
	v_fma_f64 v[28:29], v[4:5], v[2:3], v[28:29]
	buffer_store_dword v28, off, s[92:95], 0 offset:64 ; 4-byte Folded Spill
	s_nop 0
	buffer_store_dword v29, off, s[92:95], 0 offset:68 ; 4-byte Folded Spill
	buffer_load_dword v28, off, s[92:95], 0 offset:144 ; 4-byte Folded Reload
	s_nop 0
	;; [unrolled: 8-line block ×7, first 2 shown]
	buffer_load_dword v1, off, s[92:95], 0 offset:196 ; 4-byte Folded Reload
	s_waitcnt vmcnt(0)
	v_fma_f64 v[0:1], v[10:11], v[2:3], v[0:1]
	buffer_store_dword v0, off, s[92:95], 0 offset:128 ; 4-byte Folded Spill
	s_nop 0
	buffer_store_dword v1, off, s[92:95], 0 offset:132 ; 4-byte Folded Spill
	global_load_dwordx4 v[0:3], v[12:13], off offset:32
	s_waitcnt vmcnt(0)
	v_fma_f64 v[28:29], v[4:5], v[0:1], v[38:39]
	buffer_store_dword v28, off, s[92:95], 0 offset:192 ; 4-byte Folded Spill
	s_nop 0
	buffer_store_dword v29, off, s[92:95], 0 offset:196 ; 4-byte Folded Spill
	v_fma_f64 v[28:29], v[4:5], v[2:3], v[40:41]
	buffer_store_dword v28, off, s[92:95], 0 offset:232 ; 4-byte Folded Spill
	s_nop 0
	buffer_store_dword v29, off, s[92:95], 0 offset:236 ; 4-byte Folded Spill
	;; [unrolled: 4-line block ×5, first 2 shown]
	v_fma_f64 v[28:29], v[8:9], v[2:3], v[52:53]
	v_fma_f64 v[0:1], v[10:11], v[0:1], v[56:57]
	buffer_store_dword v28, off, s[92:95], 0 offset:216 ; 4-byte Folded Spill
	s_nop 0
	buffer_store_dword v29, off, s[92:95], 0 offset:220 ; 4-byte Folded Spill
	buffer_store_dword v0, off, s[92:95], 0 offset:160 ; 4-byte Folded Spill
	s_nop 0
	buffer_store_dword v1, off, s[92:95], 0 offset:164 ; 4-byte Folded Spill
	v_fma_f64 v[0:1], v[10:11], v[2:3], v[60:61]
	buffer_store_dword v0, off, s[92:95], 0 offset:176 ; 4-byte Folded Spill
	s_nop 0
	buffer_store_dword v1, off, s[92:95], 0 offset:180 ; 4-byte Folded Spill
	global_load_dwordx4 v[0:3], v[12:13], off offset:48
	s_waitcnt vmcnt(0)
	v_fma_f64 v[56:57], v[4:5], v[0:1], v[30:31]
	v_fma_f64 v[28:29], v[4:5], v[2:3], v[22:23]
	;; [unrolled: 1-line block ×3, first 2 shown]
	buffer_store_dword v4, off, s[92:95], 0 offset:328 ; 4-byte Folded Spill
	s_nop 0
	buffer_store_dword v5, off, s[92:95], 0 offset:332 ; 4-byte Folded Spill
	v_fma_f64 v[4:5], v[6:7], v[2:3], v[50:51]
	buffer_store_dword v4, off, s[92:95], 0 offset:288 ; 4-byte Folded Spill
	s_nop 0
	buffer_store_dword v5, off, s[92:95], 0 offset:292 ; 4-byte Folded Spill
	v_fma_f64 v[4:5], v[8:9], v[0:1], v[54:55]
	;; [unrolled: 4-line block ×3, first 2 shown]
	v_fma_f64 v[0:1], v[10:11], v[0:1], v[18:19]
	buffer_store_dword v4, off, s[92:95], 0 offset:320 ; 4-byte Folded Spill
	s_nop 0
	buffer_store_dword v5, off, s[92:95], 0 offset:324 ; 4-byte Folded Spill
	buffer_store_dword v0, off, s[92:95], 0 offset:304 ; 4-byte Folded Spill
	s_nop 0
	buffer_store_dword v1, off, s[92:95], 0 offset:308 ; 4-byte Folded Spill
	v_fma_f64 v[0:1], v[10:11], v[2:3], v[14:15]
	buffer_store_dword v0, off, s[92:95], 0 offset:312 ; 4-byte Folded Spill
	s_nop 0
	buffer_store_dword v1, off, s[92:95], 0 offset:316 ; 4-byte Folded Spill
	buffer_load_dword v0, off, s[92:95], 0 offset:48 ; 4-byte Folded Reload
	s_nop 0
	buffer_load_dword v1, off, s[92:95], 0 offset:52 ; 4-byte Folded Reload
	v_mov_b32_e32 v3, s89
	s_waitcnt vmcnt(0)
	v_ashrrev_i32_e32 v1, 31, v0
	v_lshlrev_b64 v[0:1], 3, v[0:1]
	v_add_co_u32_e32 v2, vcc, s88, v0
	v_addc_co_u32_e32 v3, vcc, v3, v1, vcc
	global_load_dwordx2 v[30:31], v[2:3], off
	s_waitcnt vmcnt(0)
	v_div_scale_f64 v[2:3], s[0:1], v[30:31], v[30:31], 1.0
	v_rcp_f64_e32 v[4:5], v[2:3]
	v_fma_f64 v[6:7], -v[2:3], v[4:5], 1.0
	v_fma_f64 v[4:5], v[4:5], v[6:7], v[4:5]
	v_fma_f64 v[6:7], -v[2:3], v[4:5], 1.0
	v_fma_f64 v[4:5], v[4:5], v[6:7], v[4:5]
	v_div_scale_f64 v[6:7], vcc, 1.0, v[30:31], 1.0
	v_mul_f64 v[8:9], v[6:7], v[4:5]
	v_fma_f64 v[2:3], -v[2:3], v[8:9], v[6:7]
	s_nop 1
	v_div_fmas_f64 v[38:39], v[2:3], v[4:5], v[8:9]
	v_frexp_exp_i32_f64_e32 v2, v[30:31]
	v_cvt_f32_i32_e32 v2, v2
	v_mul_f32_e32 v2, 0x3eaaaaab, v2
	v_rndne_f32_e32 v2, v2
	v_cvt_i32_f32_e32 v8, v2
	v_mul_lo_u32 v2, v8, -3
	v_ldexp_f64 v[2:3], |v[30:31]|, v2
	v_cvt_f32_f64_e32 v4, v[2:3]
	v_log_f32_e32 v4, v4
	v_mul_f32_e32 v4, 0x3eaaaaab, v4
	v_exp_f32_e32 v4, v4
	v_cvt_f64_f32_e32 v[6:7], v4
	v_mul_f64 v[4:5], v[6:7], v[6:7]
	v_add_f64 v[9:10], v[6:7], v[6:7]
	v_fma_f64 v[9:10], v[9:10], v[4:5], v[2:3]
	v_fma_f64 v[2:3], -v[6:7], v[4:5], v[2:3]
	v_rcp_f64_e32 v[11:12], v[9:10]
	v_fma_f64 v[13:14], -v[9:10], v[11:12], 1.0
	v_fma_f64 v[11:12], v[13:14], v[11:12], v[11:12]
	v_fma_f64 v[4:5], -v[9:10], v[11:12], 1.0
	v_fma_f64 v[4:5], v[4:5], v[11:12], v[11:12]
	v_mul_f64 v[11:12], v[2:3], v[4:5]
	v_fma_f64 v[2:3], -v[9:10], v[11:12], v[2:3]
	s_waitcnt lgkmcnt(0)
	v_mov_b32_e32 v9, s25
	v_fma_f64 v[2:3], v[2:3], v[4:5], v[11:12]
	buffer_load_dword v4, off, s[92:95], 0 offset:40 ; 4-byte Folded Reload
	buffer_load_dword v5, off, s[92:95], 0 offset:44 ; 4-byte Folded Reload
	v_fma_f64 v[2:3], v[6:7], v[2:3], v[6:7]
	s_waitcnt vmcnt(0)
	v_lshlrev_b64 v[4:5], 2, v[4:5]
	v_add_co_u32_e32 v4, vcc, s24, v4
	v_addc_co_u32_e32 v5, vcc, v9, v5, vcc
	global_load_dwordx4 v[40:43], v[4:5], off
	s_mov_b64 s[24:25], s[4:5]
	s_load_dwordx8 s[0:7], s[24:25], 0x40
	s_waitcnt lgkmcnt(0)
	v_mov_b32_e32 v9, s5
	s_waitcnt vmcnt(0)
	v_ashrrev_i32_e32 v19, 31, v43
	v_mov_b32_e32 v18, v43
	buffer_store_dword v18, off, s[92:95], 0 offset:336 ; 4-byte Folded Spill
	s_nop 0
	buffer_store_dword v19, off, s[92:95], 0 offset:340 ; 4-byte Folded Spill
	v_add_co_u32_e32 v18, vcc, s4, v0
	v_addc_co_u32_e32 v19, vcc, v9, v1, vcc
	global_load_dwordx2 v[6:7], v[18:19], off
	v_mov_b32_e32 v9, s7
	v_add_co_u32_e32 v0, vcc, s6, v0
	v_addc_co_u32_e32 v1, vcc, v9, v1, vcc
	global_load_dwordx2 v[0:1], v[0:1], off
	s_load_dwordx4 s[4:7], s[24:25], 0x80
	v_mov_b32_e32 v18, 0x47ae147b
	v_mov_b32_e32 v19, 0xbf847ae1
	v_ashrrev_i32_e32 v15, 31, v40
	v_mov_b32_e32 v14, v40
	s_waitcnt lgkmcnt(0)
	v_mul_f64 v[18:19], s[6:7], v[18:19]
	s_brev_b32 s6, -2
	v_ashrrev_i32_e32 v11, 31, v41
	v_mov_b32_e32 v10, v41
	v_ashrrev_i32_e32 v13, 31, v42
	v_mov_b32_e32 v12, v42
	s_waitcnt vmcnt(1)
	v_mul_f64 v[6:7], v[18:19], v[6:7]
	s_waitcnt vmcnt(0)
	v_mul_f64 v[18:19], v[6:7], v[0:1]
	v_ldexp_f64 v[0:1], v[2:3], v8
	v_mov_b32_e32 v2, 0x198
	v_cmp_class_f64_e32 vcc, v[30:31], v2
	v_bfi_b32 v1, s6, v1, v31
	v_cndmask_b32_e32 v40, v30, v0, vcc
	v_cndmask_b32_e32 v41, v31, v1, vcc
	v_div_scale_f64 v[0:1], s[6:7], v[40:41], v[40:41], v[18:19]
	v_rcp_f64_e32 v[2:3], v[0:1]
	v_fma_f64 v[6:7], -v[0:1], v[2:3], 1.0
	v_fma_f64 v[2:3], v[2:3], v[6:7], v[2:3]
	v_fma_f64 v[6:7], -v[0:1], v[2:3], 1.0
	v_fma_f64 v[2:3], v[2:3], v[6:7], v[2:3]
	v_div_scale_f64 v[6:7], vcc, v[18:19], v[40:41], v[18:19]
	v_mul_f64 v[8:9], v[6:7], v[2:3]
	v_fma_f64 v[0:1], -v[0:1], v[8:9], v[6:7]
	s_nop 1
	v_div_fmas_f64 v[42:43], v[0:1], v[2:3], v[8:9]
	global_load_dwordx4 v[5:8], v[4:5], off offset:16
	v_div_fixup_f64 v[0:1], v[42:43], v[40:41], v[18:19]
	buffer_store_dword v0, off, s[92:95], 0 offset:208 ; 4-byte Folded Spill
	s_nop 0
	buffer_store_dword v1, off, s[92:95], 0 offset:212 ; 4-byte Folded Spill
	v_lshlrev_b64 v[0:1], 3, v[14:15]
	buffer_store_dword v0, off, s[92:95], 0 offset:104 ; 4-byte Folded Spill
	s_nop 0
	buffer_store_dword v1, off, s[92:95], 0 offset:108 ; 4-byte Folded Spill
	v_div_fixup_f64 v[18:19], v[38:39], v[30:31], 1.0
	v_fma_f64 v[60:61], -v[18:19], v[20:21], s[54:55]
	v_fma_f64 v[36:37], -v[18:19], v[36:37], s[52:53]
	;; [unrolled: 1-line block ×4, first 2 shown]
	s_waitcnt vmcnt(4)
	v_ashrrev_i32_e32 v47, 31, v6
	v_mov_b32_e32 v46, v6
	v_mov_b32_e32 v6, s91
	v_ashrrev_i32_e32 v3, 31, v5
	v_mov_b32_e32 v2, v5
	v_ashrrev_i32_e32 v49, 31, v7
	v_mov_b32_e32 v48, v7
	v_ashrrev_i32_e32 v51, 31, v8
	v_mov_b32_e32 v50, v8
	v_fma_f64 v[8:9], -v[18:19], v[32:33], s[70:71]
	v_fma_f64 v[4:5], -v[18:19], v[34:35], s[10:11]
	v_lshlrev_b64 v[2:3], 3, v[2:3]
	s_mov_b64 s[8:9], s[28:29]
	s_mov_b64 s[10:11], s[30:31]
	;; [unrolled: 1-line block ×3, first 2 shown]
	v_add_co_u32_e32 v30, vcc, s90, v0
	v_addc_co_u32_e32 v31, vcc, v6, v1, vcc
	v_lshlrev_b64 v[0:1], 3, v[10:11]
	buffer_store_dword v0, off, s[92:95], 0 offset:112 ; 4-byte Folded Spill
	s_nop 0
	buffer_store_dword v1, off, s[92:95], 0 offset:116 ; 4-byte Folded Spill
	v_add_co_u32_e32 v10, vcc, s90, v0
	v_addc_co_u32_e32 v11, vcc, v6, v1, vcc
	v_fma_f64 v[6:7], -v[18:19], v[16:17], s[38:39]
	global_load_dwordx2 v[10:11], v[10:11], off
	s_nop 0
	global_load_dwordx2 v[30:31], v[30:31], off
	s_nop 0
	buffer_store_dword v8, off, s[92:95], 0 offset:96 ; 4-byte Folded Spill
	s_nop 0
	buffer_store_dword v9, off, s[92:95], 0 offset:100 ; 4-byte Folded Spill
	buffer_store_dword v6, off, s[92:95], 0 offset:88 ; 4-byte Folded Spill
	s_nop 0
	buffer_store_dword v7, off, s[92:95], 0 offset:92 ; 4-byte Folded Spill
	;; [unrolled: 3-line block ×3, first 2 shown]
	buffer_load_dword v0, off, s[92:95], 0 offset:120 ; 4-byte Folded Reload
	buffer_load_dword v1, off, s[92:95], 0 offset:124 ; 4-byte Folded Reload
	s_waitcnt vmcnt(9)
	v_mul_f64 v[20:21], v[10:11], v[60:61]
	v_mul_f64 v[16:17], v[10:11], v[8:9]
	buffer_store_dword v60, off, s[92:95], 0 offset:352 ; 4-byte Folded Spill
	s_nop 0
	buffer_store_dword v61, off, s[92:95], 0 offset:356 ; 4-byte Folded Spill
	v_mul_f64 v[24:25], v[10:11], v[6:7]
	v_mul_f64 v[10:11], v[10:11], v[4:5]
	v_mov_b32_e32 v6, s91
	s_waitcnt vmcnt(2)
	v_fma_f64 v[42:43], -v[18:19], v[0:1], s[68:69]
	v_lshlrev_b64 v[0:1], 3, v[12:13]
	v_fma_f64 v[26:27], v[30:31], v[36:37], v[20:21]
	v_fma_f64 v[24:25], v[30:31], v[52:53], v[24:25]
	;; [unrolled: 1-line block ×3, first 2 shown]
	v_mov_b32_e32 v45, v43
	v_fma_f64 v[16:17], v[30:31], v[42:43], v[16:17]
	v_mov_b32_e32 v44, v42
	v_mov_b32_e32 v43, v37
	;; [unrolled: 1-line block ×3, first 2 shown]
	buffer_store_dword v44, off, s[92:95], 0 offset:256 ; 4-byte Folded Spill
	s_nop 0
	buffer_store_dword v45, off, s[92:95], 0 offset:260 ; 4-byte Folded Spill
	buffer_store_dword v42, off, s[92:95], 0 offset:248 ; 4-byte Folded Spill
	s_nop 0
	buffer_store_dword v43, off, s[92:95], 0 offset:252 ; 4-byte Folded Spill
	buffer_store_dword v52, off, s[92:95], 0 offset:264 ; 4-byte Folded Spill
	s_nop 0
	buffer_store_dword v53, off, s[92:95], 0 offset:268 ; 4-byte Folded Spill
	buffer_store_dword v54, off, s[92:95], 0 offset:272 ; 4-byte Folded Spill
	s_nop 0
	buffer_store_dword v55, off, s[92:95], 0 offset:276 ; 4-byte Folded Spill
	buffer_store_dword v0, off, s[92:95], 0 offset:120 ; 4-byte Folded Spill
	s_nop 0
	buffer_store_dword v1, off, s[92:95], 0 offset:124 ; 4-byte Folded Spill
	v_add_co_u32_e32 v12, vcc, s90, v0
	v_addc_co_u32_e32 v13, vcc, v6, v1, vcc
	global_load_dwordx2 v[12:13], v[12:13], off
	s_nop 0
	buffer_load_dword v0, off, s[92:95], 0 offset:56 ; 4-byte Folded Reload
	buffer_load_dword v1, off, s[92:95], 0 offset:60 ; 4-byte Folded Reload
	s_waitcnt vmcnt(0)
	v_fma_f64 v[6:7], -v[18:19], v[0:1], s[72:73]
	buffer_store_dword v6, off, s[92:95], 0 offset:144 ; 4-byte Folded Spill
	s_nop 0
	buffer_store_dword v7, off, s[92:95], 0 offset:148 ; 4-byte Folded Spill
	buffer_load_dword v0, off, s[92:95], 0 offset:168 ; 4-byte Folded Reload
	buffer_load_dword v1, off, s[92:95], 0 offset:172 ; 4-byte Folded Reload
	v_fma_f64 v[14:15], v[12:13], v[6:7], v[16:17]
	s_waitcnt vmcnt(0)
	v_fma_f64 v[8:9], -v[18:19], v[0:1], s[56:57]
	buffer_store_dword v8, off, s[92:95], 0 offset:168 ; 4-byte Folded Spill
	s_nop 0
	buffer_store_dword v9, off, s[92:95], 0 offset:172 ; 4-byte Folded Spill
	buffer_load_dword v0, off, s[92:95], 0 offset:200 ; 4-byte Folded Reload
	buffer_load_dword v1, off, s[92:95], 0 offset:204 ; 4-byte Folded Reload
	v_fma_f64 v[32:33], v[12:13], v[8:9], v[26:27]
	;; [unrolled: 8-line block ×3, first 2 shown]
	s_waitcnt vmcnt(0)
	v_fma_f64 v[0:1], -v[18:19], v[0:1], s[12:13]
	buffer_store_dword v0, off, s[92:95], 0 offset:48 ; 4-byte Folded Spill
	s_nop 0
	buffer_store_dword v1, off, s[92:95], 0 offset:52 ; 4-byte Folded Spill
	v_fma_f64 v[10:11], v[12:13], v[0:1], v[10:11]
	buffer_load_dword v0, off, s[92:95], 0 offset:64 ; 4-byte Folded Reload
	buffer_load_dword v1, off, s[92:95], 0 offset:68 ; 4-byte Folded Reload
	s_waitcnt vmcnt(0)
	v_fma_f64 v[26:27], -v[18:19], v[0:1], s[74:75]
	buffer_store_dword v26, off, s[92:95], 0 offset:200 ; 4-byte Folded Spill
	s_nop 0
	buffer_store_dword v27, off, s[92:95], 0 offset:204 ; 4-byte Folded Spill
	buffer_load_dword v0, off, s[92:95], 0 offset:192 ; 4-byte Folded Reload
	buffer_load_dword v1, off, s[92:95], 0 offset:196 ; 4-byte Folded Reload
	s_waitcnt vmcnt(0)
	v_fma_f64 v[36:37], -v[18:19], v[0:1], s[76:77]
	buffer_store_dword v36, off, s[92:95], 0 offset:40 ; 4-byte Folded Spill
	s_nop 0
	buffer_store_dword v37, off, s[92:95], 0 offset:44 ; 4-byte Folded Spill
	buffer_load_dword v0, off, s[92:95], 0 offset:232 ; 4-byte Folded Reload
	buffer_load_dword v1, off, s[92:95], 0 offset:236 ; 4-byte Folded Reload
	s_waitcnt vmcnt(0)
	v_fma_f64 v[58:59], -v[18:19], v[0:1], s[78:79]
	v_fma_f64 v[0:1], -v[18:19], v[56:57], s[80:81]
	buffer_store_dword v0, off, s[92:95], 0 offset:64 ; 4-byte Folded Spill
	s_nop 0
	buffer_store_dword v1, off, s[92:95], 0 offset:68 ; 4-byte Folded Spill
	v_fma_f64 v[0:1], -v[18:19], v[28:29], s[82:83]
	buffer_store_dword v0, off, s[92:95], 0 offset:280 ; 4-byte Folded Spill
	s_nop 0
	buffer_store_dword v1, off, s[92:95], 0 offset:284 ; 4-byte Folded Spill
	buffer_load_dword v0, off, s[92:95], 0 offset:136 ; 4-byte Folded Reload
	s_nop 0
	buffer_load_dword v1, off, s[92:95], 0 offset:140 ; 4-byte Folded Reload
	s_waitcnt vmcnt(0)
	v_fma_f64 v[0:1], -v[18:19], v[0:1], s[58:59]
	buffer_store_dword v0, off, s[92:95], 0 offset:344 ; 4-byte Folded Spill
	s_nop 0
	buffer_store_dword v1, off, s[92:95], 0 offset:348 ; 4-byte Folded Spill
	buffer_load_dword v6, off, s[92:95], 0 offset:152 ; 4-byte Folded Reload
	buffer_load_dword v7, off, s[92:95], 0 offset:156 ; 4-byte Folded Reload
	s_waitcnt vmcnt(0)
	v_fma_f64 v[30:31], -v[18:19], v[6:7], s[60:61]
	buffer_store_dword v30, off, s[92:95], 0 offset:192 ; 4-byte Folded Spill
	s_nop 0
	buffer_store_dword v31, off, s[92:95], 0 offset:196 ; 4-byte Folded Spill
	buffer_load_dword v6, off, s[92:95], 0 offset:224 ; 4-byte Folded Reload
	;; [unrolled: 7-line block ×3, first 2 shown]
	buffer_load_dword v7, off, s[92:95], 0 offset:332 ; 4-byte Folded Reload
	buffer_load_dword v12, off, s[92:95], 0 offset:288 ; 4-byte Folded Reload
	;; [unrolled: 1-line block ×3, first 2 shown]
	s_waitcnt vmcnt(2)
	v_fma_f64 v[40:41], -v[18:19], v[6:7], s[64:65]
	s_waitcnt vmcnt(0)
	v_fma_f64 v[4:5], -v[18:19], v[12:13], s[66:67]
	buffer_store_dword v4, off, s[92:95], 0 offset:288 ; 4-byte Folded Spill
	s_nop 0
	buffer_store_dword v5, off, s[92:95], 0 offset:292 ; 4-byte Folded Spill
	buffer_load_dword v12, off, s[92:95], 0 offset:72 ; 4-byte Folded Reload
	buffer_load_dword v13, off, s[92:95], 0 offset:76 ; 4-byte Folded Reload
	s_waitcnt vmcnt(0)
	v_fma_f64 v[56:57], -v[18:19], v[12:13], s[42:43]
	buffer_load_dword v12, off, s[92:95], 0 offset:184 ; 4-byte Folded Reload
	buffer_load_dword v13, off, s[92:95], 0 offset:188 ; 4-byte Folded Reload
	s_waitcnt vmcnt(0)
	v_fma_f64 v[8:9], -v[18:19], v[12:13], s[44:45]
	buffer_store_dword v8, off, s[92:95], 0 offset:72 ; 4-byte Folded Spill
	s_nop 0
	buffer_store_dword v9, off, s[92:95], 0 offset:76 ; 4-byte Folded Spill
	buffer_load_dword v12, off, s[92:95], 0 offset:216 ; 4-byte Folded Reload
	buffer_load_dword v13, off, s[92:95], 0 offset:220 ; 4-byte Folded Reload
	s_waitcnt vmcnt(0)
	v_fma_f64 v[20:21], -v[18:19], v[12:13], s[46:47]
	buffer_store_dword v20, off, s[92:95], 0 offset:240 ; 4-byte Folded Spill
	s_nop 0
	buffer_store_dword v21, off, s[92:95], 0 offset:244 ; 4-byte Folded Spill
	;; [unrolled: 7-line block ×4, first 2 shown]
	buffer_load_dword v12, off, s[92:95], 0 offset:128 ; 4-byte Folded Reload
	buffer_load_dword v13, off, s[92:95], 0 offset:132 ; 4-byte Folded Reload
	s_waitcnt vmcnt(0)
	v_fma_f64 v[24:25], -v[18:19], v[12:13], s[14:15]
	buffer_load_dword v12, off, s[92:95], 0 offset:160 ; 4-byte Folded Reload
	buffer_load_dword v13, off, s[92:95], 0 offset:164 ; 4-byte Folded Reload
	s_waitcnt vmcnt(0)
	v_fma_f64 v[4:5], -v[18:19], v[12:13], s[16:17]
	buffer_store_dword v4, off, s[92:95], 0 offset:184 ; 4-byte Folded Spill
	s_nop 0
	buffer_store_dword v5, off, s[92:95], 0 offset:188 ; 4-byte Folded Spill
	buffer_load_dword v12, off, s[92:95], 0 offset:176 ; 4-byte Folded Reload
	buffer_load_dword v13, off, s[92:95], 0 offset:180 ; 4-byte Folded Reload
	s_waitcnt vmcnt(0)
	v_fma_f64 v[16:17], -v[18:19], v[12:13], s[18:19]
	buffer_store_dword v16, off, s[92:95], 0 offset:224 ; 4-byte Folded Spill
	s_nop 0
	buffer_store_dword v17, off, s[92:95], 0 offset:228 ; 4-byte Folded Spill
	;; [unrolled: 7-line block ×3, first 2 shown]
	buffer_load_dword v12, off, s[92:95], 0 offset:312 ; 4-byte Folded Reload
	buffer_load_dword v13, off, s[92:95], 0 offset:316 ; 4-byte Folded Reload
	;; [unrolled: 1-line block ×4, first 2 shown]
	s_waitcnt vmcnt(2)
	v_fma_f64 v[18:19], -v[18:19], v[12:13], s[22:23]
	s_waitcnt vmcnt(0)
	v_lshlrev_b64 v[12:13], 3, v[6:7]
	buffer_store_dword v12, off, s[92:95], 0 offset:128 ; 4-byte Folded Spill
	s_nop 0
	buffer_store_dword v13, off, s[92:95], 0 offset:132 ; 4-byte Folded Spill
	v_mov_b32_e32 v6, s91
	v_add_co_u32_e32 v12, vcc, s90, v12
	v_addc_co_u32_e32 v13, vcc, v6, v13, vcc
	global_load_dwordx2 v[12:13], v[12:13], off
	s_nop 0
	buffer_store_dword v2, off, s[92:95], 0 offset:136 ; 4-byte Folded Spill
	s_nop 0
	buffer_store_dword v3, off, s[92:95], 0 offset:140 ; 4-byte Folded Spill
	s_waitcnt vmcnt(2)
	v_fma_f64 v[32:33], v[12:13], v[0:1], v[32:33]
	v_mov_b32_e32 v1, s91
	v_add_co_u32_e32 v0, vcc, s90, v2
	v_addc_co_u32_e32 v1, vcc, v1, v3, vcc
	global_load_dwordx2 v[0:1], v[0:1], off
	v_fma_f64 v[14:15], v[12:13], v[26:27], v[14:15]
	v_fma_f64 v[34:35], v[12:13], v[56:57], v[34:35]
	v_fma_f64 v[10:11], v[12:13], v[24:25], v[10:11]
	v_mov_b32_e32 v3, s91
	s_waitcnt vmcnt(0)
	v_fma_f64 v[12:13], v[0:1], v[30:31], v[32:33]
	v_fma_f64 v[32:33], v[0:1], v[36:37], v[14:15]
	;; [unrolled: 1-line block ×4, first 2 shown]
	v_lshlrev_b64 v[4:5], 3, v[46:47]
	buffer_store_dword v4, off, s[92:95], 0 offset:160 ; 4-byte Folded Spill
	s_nop 0
	buffer_store_dword v5, off, s[92:95], 0 offset:164 ; 4-byte Folded Spill
	v_add_co_u32_e32 v2, vcc, s90, v4
	v_addc_co_u32_e32 v3, vcc, v3, v5, vcc
	v_lshlrev_b64 v[4:5], 3, v[48:49]
	global_load_dwordx2 v[2:3], v[2:3], off
	s_nop 0
	buffer_store_dword v58, off, s[92:95], 0 offset:360 ; 4-byte Folded Spill
	s_nop 0
	buffer_store_dword v59, off, s[92:95], 0 offset:364 ; 4-byte Folded Spill
	buffer_store_dword v4, off, s[92:95], 0 offset:176 ; 4-byte Folded Spill
	s_nop 0
	buffer_store_dword v5, off, s[92:95], 0 offset:180 ; 4-byte Folded Spill
	s_waitcnt vmcnt(4)
	v_fma_f64 v[10:11], v[2:3], v[28:29], v[12:13]
	v_fma_f64 v[32:33], v[2:3], v[58:59], v[32:33]
	;; [unrolled: 1-line block ×4, first 2 shown]
	v_mov_b32_e32 v3, s91
	v_add_co_u32_e32 v2, vcc, s90, v4
	v_addc_co_u32_e32 v3, vcc, v3, v5, vcc
	global_load_dwordx2 v[2:3], v[2:3], off
	s_waitcnt vmcnt(0)
	v_fma_f64 v[4:5], v[2:3], v[40:41], v[10:11]
	buffer_store_dword v40, off, s[92:95], 0 offset:368 ; 4-byte Folded Spill
	s_nop 0
	buffer_store_dword v41, off, s[92:95], 0 offset:372 ; 4-byte Folded Spill
	buffer_load_dword v6, off, s[92:95], 0 offset:64 ; 4-byte Folded Reload
	buffer_load_dword v7, off, s[92:95], 0 offset:68 ; 4-byte Folded Reload
	v_fma_f64 v[34:35], v[2:3], v[38:39], v[34:35]
	s_waitcnt vmcnt(0)
	v_fma_f64 v[32:33], v[2:3], v[6:7], v[32:33]
	v_fma_f64 v[6:7], v[2:3], v[22:23], v[0:1]
	v_lshlrev_b64 v[2:3], 3, v[50:51]
	buffer_store_dword v2, off, s[92:95], 0 offset:312 ; 4-byte Folded Spill
	s_nop 0
	buffer_store_dword v3, off, s[92:95], 0 offset:316 ; 4-byte Folded Spill
	v_mov_b32_e32 v0, s91
	v_add_co_u32_e32 v2, vcc, s90, v2
	v_addc_co_u32_e32 v3, vcc, v0, v3, vcc
	global_load_dwordx2 v[0:1], v[2:3], off
	buffer_load_dword v14, off, s[92:95], 0 offset:288 ; 4-byte Folded Reload
	buffer_load_dword v15, off, s[92:95], 0 offset:292 ; 4-byte Folded Reload
	;; [unrolled: 1-line block ×6, first 2 shown]
	s_waitcnt vmcnt(4)
	v_fma_f64 v[2:3], v[0:1], v[14:15], v[4:5]
	s_waitcnt vmcnt(2)
	v_fma_f64 v[4:5], v[0:1], v[36:37], v[32:33]
	;; [unrolled: 2-line block ×3, first 2 shown]
	v_fma_f64 v[0:1], v[0:1], v[18:19], v[6:7]
	buffer_store_dword v18, off, s[92:95], 0 offset:304 ; 4-byte Folded Spill
	s_nop 0
	buffer_store_dword v19, off, s[92:95], 0 offset:308 ; 4-byte Folded Spill
	buffer_load_dword v38, off, s[92:95], 0 offset:96 ; 4-byte Folded Reload
	buffer_load_dword v39, off, s[92:95], 0 offset:100 ; 4-byte Folded Reload
	buffer_load_dword v26, off, s[92:95], 0 offset:88 ; 4-byte Folded Reload
	buffer_load_dword v27, off, s[92:95], 0 offset:92 ; 4-byte Folded Reload
	buffer_load_dword v20, off, s[92:95], 0 offset:80 ; 4-byte Folded Reload
	buffer_load_dword v21, off, s[92:95], 0 offset:84 ; 4-byte Folded Reload
	buffer_load_dword v28, off, s[92:95], 0 offset:208 ; 4-byte Folded Reload
	buffer_load_dword v29, off, s[92:95], 0 offset:212 ; 4-byte Folded Reload
	buffer_load_dword v10, off, s[92:95], 0 offset:32 ; 4-byte Folded Reload
	buffer_load_dword v11, off, s[92:95], 0 offset:36 ; 4-byte Folded Reload
	v_mul_f64 v[6:7], v[42:43], v[2:3]
	v_mul_f64 v[32:33], v[60:61], v[2:3]
	v_fma_f64 v[6:7], v[44:45], v[4:5], v[6:7]
	v_fma_f64 v[6:7], v[52:53], v[8:9], v[6:7]
	;; [unrolled: 1-line block ×3, first 2 shown]
	s_waitcnt vmcnt(8)
	v_fma_f64 v[32:33], v[38:39], v[4:5], v[32:33]
	s_waitcnt vmcnt(6)
	v_fma_f64 v[32:33], v[26:27], v[8:9], v[32:33]
	;; [unrolled: 2-line block ×3, first 2 shown]
	s_waitcnt vmcnt(2)
	v_mul_f64 v[32:33], v[28:29], v[6:7]
	v_mov_b32_e32 v7, s9
	s_waitcnt vmcnt(1)
	v_add_co_u32_e32 v6, vcc, s8, v10
	s_waitcnt vmcnt(0)
	v_addc_co_u32_e32 v7, vcc, v7, v11, vcc
	v_mul_f64 v[34:35], v[28:29], v[34:35]
	global_store_dwordx4 v[6:7], v[32:35], off
	buffer_load_dword v30, off, s[92:95], 0 offset:168 ; 4-byte Folded Reload
	buffer_load_dword v31, off, s[92:95], 0 offset:172 ; 4-byte Folded Reload
	;; [unrolled: 1-line block ×12, first 2 shown]
	s_waitcnt vmcnt(10)
	v_mul_f64 v[32:33], v[30:31], v[2:3]
	s_waitcnt vmcnt(6)
	v_mul_f64 v[34:35], v[44:45], v[2:3]
	v_fma_f64 v[32:33], v[42:43], v[4:5], v[32:33]
	s_waitcnt vmcnt(4)
	v_fma_f64 v[34:35], v[12:13], v[4:5], v[34:35]
	s_waitcnt vmcnt(2)
	v_fma_f64 v[32:33], v[52:53], v[8:9], v[32:33]
	v_fma_f64 v[34:35], v[56:57], v[8:9], v[34:35]
	s_waitcnt vmcnt(0)
	v_fma_f64 v[32:33], v[50:51], v[0:1], v[32:33]
	v_fma_f64 v[34:35], v[24:25], v[0:1], v[34:35]
	v_mul_f64 v[32:33], v[28:29], v[32:33]
	v_mul_f64 v[34:35], v[28:29], v[34:35]
	global_store_dwordx4 v[6:7], v[32:35], off offset:16
	buffer_load_dword v10, off, s[92:95], 0 offset:192 ; 4-byte Folded Reload
	buffer_load_dword v11, off, s[92:95], 0 offset:196 ; 4-byte Folded Reload
	;; [unrolled: 1-line block ×4, first 2 shown]
	s_waitcnt vmcnt(2)
	v_mul_f64 v[32:33], v[10:11], v[2:3]
	s_waitcnt vmcnt(0)
	v_fma_f64 v[32:33], v[16:17], v[4:5], v[32:33]
	buffer_load_dword v16, off, s[92:95], 0 offset:152 ; 4-byte Folded Reload
	buffer_load_dword v17, off, s[92:95], 0 offset:156 ; 4-byte Folded Reload
	s_waitcnt vmcnt(0)
	v_mul_f64 v[34:35], v[16:17], v[2:3]
	v_fma_f64 v[34:35], v[58:59], v[4:5], v[34:35]
	buffer_load_dword v58, off, s[92:95], 0 offset:72 ; 4-byte Folded Reload
	buffer_load_dword v59, off, s[92:95], 0 offset:76 ; 4-byte Folded Reload
	;; [unrolled: 1-line block ×8, first 2 shown]
	s_waitcnt vmcnt(6)
	v_fma_f64 v[32:33], v[58:59], v[8:9], v[32:33]
	s_waitcnt vmcnt(4)
	v_fma_f64 v[34:35], v[60:61], v[8:9], v[34:35]
	s_waitcnt vmcnt(2)
	v_fma_f64 v[32:33], v[22:23], v[0:1], v[32:33]
	s_waitcnt vmcnt(0)
	v_fma_f64 v[34:35], v[16:17], v[0:1], v[34:35]
	v_mul_f64 v[32:33], v[28:29], v[32:33]
	v_mul_f64 v[34:35], v[28:29], v[34:35]
	global_store_dwordx4 v[6:7], v[32:35], off offset:32
	buffer_load_dword v34, off, s[92:95], 0 offset:64 ; 4-byte Folded Reload
	s_nop 0
	buffer_load_dword v35, off, s[92:95], 0 offset:68 ; 4-byte Folded Reload
	buffer_load_dword v54, off, s[92:95], 0 offset:232 ; 4-byte Folded Reload
	buffer_load_dword v55, off, s[92:95], 0 offset:236 ; 4-byte Folded Reload
	v_mul_f64 v[32:33], v[40:41], v[2:3]
	v_mul_f64 v[2:3], v[14:15], v[2:3]
	buffer_load_dword v14, off, s[92:95], 0 offset:216 ; 4-byte Folded Reload
	buffer_load_dword v15, off, s[92:95], 0 offset:220 ; 4-byte Folded Reload
	v_fma_f64 v[2:3], v[36:37], v[4:5], v[2:3]
	s_waitcnt vmcnt(4)
	v_fma_f64 v[32:33], v[34:35], v[4:5], v[32:33]
	s_waitcnt vmcnt(2)
	v_fma_f64 v[4:5], v[54:55], v[8:9], v[32:33]
	v_mov_b32_e32 v32, v46
	v_mov_b32_e32 v33, v47
	v_fma_f64 v[2:3], v[32:33], v[8:9], v[2:3]
	s_waitcnt vmcnt(0)
	v_fma_f64 v[4:5], v[14:15], v[0:1], v[4:5]
	v_fma_f64 v[2:3], v[18:19], v[0:1], v[2:3]
	v_mul_f64 v[0:1], v[28:29], v[4:5]
	v_mul_f64 v[2:3], v[28:29], v[2:3]
	global_store_dwordx4 v[6:7], v[0:3], off offset:48
	buffer_load_dword v2, off, s[92:95], 0 offset:104 ; 4-byte Folded Reload
	s_nop 0
	buffer_load_dword v3, off, s[92:95], 0 offset:108 ; 4-byte Folded Reload
	buffer_load_dword v4, off, s[92:95], 0 offset:112 ; 4-byte Folded Reload
	;; [unrolled: 1-line block ×3, first 2 shown]
	v_mov_b32_e32 v1, s1
	s_waitcnt vmcnt(3)
	v_add_co_u32_e32 v0, vcc, s0, v2
	s_waitcnt vmcnt(2)
	v_addc_co_u32_e32 v1, vcc, v1, v3, vcc
	v_mov_b32_e32 v3, s1
	s_waitcnt vmcnt(1)
	v_add_co_u32_e32 v2, vcc, s0, v4
	s_waitcnt vmcnt(0)
	v_addc_co_u32_e32 v3, vcc, v3, v5, vcc
	global_load_dwordx2 v[2:3], v[2:3], off
	s_nop 0
	global_load_dwordx2 v[0:1], v[0:1], off
	s_nop 0
	buffer_load_dword v46, off, s[92:95], 0 offset:352 ; 4-byte Folded Reload
	buffer_load_dword v47, off, s[92:95], 0 offset:356 ; 4-byte Folded Reload
	;; [unrolled: 1-line block ×4, first 2 shown]
	s_waitcnt vmcnt(5)
	v_mul_f64 v[4:5], v[2:3], v[38:39]
	v_mul_f64 v[8:9], v[2:3], v[26:27]
	s_waitcnt vmcnt(2)
	v_mul_f64 v[6:7], v[2:3], v[46:47]
	v_mul_f64 v[2:3], v[2:3], v[20:21]
	buffer_load_dword v20, off, s[92:95], 0 offset:248 ; 4-byte Folded Reload
	buffer_load_dword v21, off, s[92:95], 0 offset:252 ; 4-byte Folded Reload
	;; [unrolled: 1-line block ×8, first 2 shown]
	s_waitcnt vmcnt(8)
	v_fma_f64 v[4:5], v[0:1], v[48:49], v[4:5]
	s_waitcnt vmcnt(6)
	v_fma_f64 v[6:7], v[0:1], v[20:21], v[6:7]
	s_waitcnt vmcnt(4)
	v_fma_f64 v[8:9], v[0:1], v[36:37], v[8:9]
	s_waitcnt vmcnt(2)
	v_fma_f64 v[0:1], v[0:1], v[40:41], v[2:3]
	v_mov_b32_e32 v3, s1
	s_waitcnt vmcnt(1)
	v_add_co_u32_e32 v2, vcc, s0, v18
	s_waitcnt vmcnt(0)
	v_addc_co_u32_e32 v3, vcc, v3, v19, vcc
	global_load_dwordx2 v[2:3], v[2:3], off
	s_nop 0
	buffer_load_dword v18, off, s[92:95], 0 offset:128 ; 4-byte Folded Reload
	buffer_load_dword v19, off, s[92:95], 0 offset:132 ; 4-byte Folded Reload
	s_waitcnt vmcnt(2)
	v_fma_f64 v[4:5], v[2:3], v[42:43], v[4:5]
	v_fma_f64 v[6:7], v[2:3], v[30:31], v[6:7]
	;; [unrolled: 1-line block ×4, first 2 shown]
	v_mov_b32_e32 v3, s1
	s_waitcnt vmcnt(1)
	v_add_co_u32_e32 v2, vcc, s0, v18
	s_waitcnt vmcnt(0)
	v_addc_co_u32_e32 v3, vcc, v3, v19, vcc
	global_load_dwordx2 v[2:3], v[2:3], off
	v_mov_b32_e32 v30, v56
	v_mov_b32_e32 v31, v57
	buffer_store_dword v30, off, s[92:95], 0 offset:328 ; 4-byte Folded Spill
	s_nop 0
	buffer_store_dword v31, off, s[92:95], 0 offset:332 ; 4-byte Folded Spill
	v_mov_b32_e32 v51, v45
	v_mov_b32_e32 v50, v44
	s_waitcnt vmcnt(2)
	v_fma_f64 v[4:5], v[2:3], v[12:13], v[4:5]
	v_mov_b32_e32 v12, v24
	v_mov_b32_e32 v13, v25
	buffer_store_dword v12, off, s[92:95], 0 offset:320 ; 4-byte Folded Spill
	s_nop 0
	buffer_store_dword v13, off, s[92:95], 0 offset:324 ; 4-byte Folded Spill
	buffer_load_dword v18, off, s[92:95], 0 offset:136 ; 4-byte Folded Reload
	buffer_load_dword v19, off, s[92:95], 0 offset:140 ; 4-byte Folded Reload
	v_fma_f64 v[6:7], v[2:3], v[50:51], v[6:7]
	v_fma_f64 v[8:9], v[2:3], v[56:57], v[8:9]
	;; [unrolled: 1-line block ×3, first 2 shown]
	v_mov_b32_e32 v3, s1
	s_waitcnt vmcnt(1)
	v_add_co_u32_e32 v2, vcc, s0, v18
	s_waitcnt vmcnt(0)
	v_addc_co_u32_e32 v3, vcc, v3, v19, vcc
	global_load_dwordx2 v[2:3], v[2:3], off
	s_nop 0
	buffer_load_dword v52, off, s[92:95], 0 offset:40 ; 4-byte Folded Reload
	buffer_load_dword v53, off, s[92:95], 0 offset:44 ; 4-byte Folded Reload
	v_mov_b32_e32 v19, v17
	v_mov_b32_e32 v18, v16
	s_waitcnt vmcnt(2)
	v_fma_f64 v[6:7], v[2:3], v[10:11], v[6:7]
	buffer_load_dword v10, off, s[92:95], 0 offset:160 ; 4-byte Folded Reload
	buffer_load_dword v11, off, s[92:95], 0 offset:164 ; 4-byte Folded Reload
	s_waitcnt vmcnt(2)
	v_fma_f64 v[4:5], v[2:3], v[52:53], v[4:5]
	v_fma_f64 v[8:9], v[2:3], v[58:59], v[8:9]
	;; [unrolled: 1-line block ×3, first 2 shown]
	v_mov_b32_e32 v3, s1
	v_mov_b32_e32 v22, v32
	;; [unrolled: 1-line block ×3, first 2 shown]
	s_waitcnt vmcnt(1)
	v_add_co_u32_e32 v2, vcc, s0, v10
	s_waitcnt vmcnt(0)
	v_addc_co_u32_e32 v3, vcc, v3, v11, vcc
	global_load_dwordx2 v[2:3], v[2:3], off
	s_nop 0
	buffer_load_dword v44, off, s[92:95], 0 offset:152 ; 4-byte Folded Reload
	buffer_load_dword v45, off, s[92:95], 0 offset:156 ; 4-byte Folded Reload
	;; [unrolled: 1-line block ×6, first 2 shown]
	s_waitcnt vmcnt(6)
	v_fma_f64 v[8:9], v[2:3], v[60:61], v[8:9]
	s_waitcnt vmcnt(4)
	v_fma_f64 v[6:7], v[2:3], v[44:45], v[6:7]
	;; [unrolled: 2-line block ×3, first 2 shown]
	v_fma_f64 v[0:1], v[2:3], v[16:17], v[0:1]
	v_mov_b32_e32 v3, s1
	s_waitcnt vmcnt(1)
	v_add_co_u32_e32 v2, vcc, s0, v10
	s_waitcnt vmcnt(0)
	v_addc_co_u32_e32 v3, vcc, v3, v11, vcc
	global_load_dwordx2 v[2:3], v[2:3], off
	s_nop 0
	buffer_load_dword v24, off, s[92:95], 0 offset:368 ; 4-byte Folded Reload
	buffer_load_dword v25, off, s[92:95], 0 offset:372 ; 4-byte Folded Reload
	buffer_load_dword v26, off, s[92:95], 0 offset:312 ; 4-byte Folded Reload
	buffer_load_dword v27, off, s[92:95], 0 offset:316 ; 4-byte Folded Reload
	s_waitcnt vmcnt(4)
	v_fma_f64 v[4:5], v[2:3], v[34:35], v[4:5]
	s_waitcnt vmcnt(2)
	v_fma_f64 v[6:7], v[2:3], v[24:25], v[6:7]
	v_fma_f64 v[8:9], v[2:3], v[54:55], v[8:9]
	;; [unrolled: 1-line block ×3, first 2 shown]
	v_mov_b32_e32 v3, s1
	s_waitcnt vmcnt(1)
	v_add_co_u32_e32 v2, vcc, s0, v26
	s_waitcnt vmcnt(0)
	v_addc_co_u32_e32 v3, vcc, v3, v27, vcc
	global_load_dwordx2 v[2:3], v[2:3], off
	s_nop 0
	buffer_load_dword v38, off, s[92:95], 0 offset:288 ; 4-byte Folded Reload
	buffer_load_dword v39, off, s[92:95], 0 offset:292 ; 4-byte Folded Reload
	;; [unrolled: 1-line block ×8, first 2 shown]
	v_mov_b32_e32 v35, s7
	s_waitcnt vmcnt(8)
	v_fma_f64 v[8:9], v[2:3], v[22:23], v[8:9]
	s_waitcnt vmcnt(6)
	v_fma_f64 v[6:7], v[2:3], v[38:39], v[6:7]
	;; [unrolled: 2-line block ×4, first 2 shown]
	v_mul_f64 v[2:3], v[46:47], v[6:7]
	v_mul_f64 v[0:1], v[20:21], v[6:7]
	s_waitcnt vmcnt(0)
	v_fma_f64 v[2:3], v[14:15], v[4:5], v[2:3]
	buffer_load_dword v14, off, s[92:95], 0 offset:88 ; 4-byte Folded Reload
	buffer_load_dword v15, off, s[92:95], 0 offset:92 ; 4-byte Folded Reload
	v_fma_f64 v[0:1], v[48:49], v[4:5], v[0:1]
	v_mov_b32_e32 v49, v47
	v_mov_b32_e32 v48, v46
	;; [unrolled: 1-line block ×4, first 2 shown]
	v_fma_f64 v[0:1], v[36:37], v[8:9], v[0:1]
	v_fma_f64 v[0:1], v[40:41], v[32:33], v[0:1]
	v_mul_f64 v[0:1], v[28:29], v[0:1]
	s_waitcnt vmcnt(0)
	v_fma_f64 v[2:3], v[14:15], v[8:9], v[2:3]
	buffer_load_dword v14, off, s[92:95], 0 offset:80 ; 4-byte Folded Reload
	buffer_load_dword v15, off, s[92:95], 0 offset:84 ; 4-byte Folded Reload
	s_waitcnt vmcnt(0)
	v_fma_f64 v[2:3], v[14:15], v[32:33], v[2:3]
	buffer_load_dword v14, off, s[92:95], 0 offset:32 ; 4-byte Folded Reload
	buffer_load_dword v15, off, s[92:95], 0 offset:36 ; 4-byte Folded Reload
	v_mul_f64 v[2:3], v[28:29], v[2:3]
	s_waitcnt vmcnt(1)
	v_add_co_u32_e32 v34, vcc, s6, v14
	s_waitcnt vmcnt(0)
	v_addc_co_u32_e32 v35, vcc, v35, v15, vcc
	global_store_dwordx4 v[34:35], v[0:3], off
	buffer_load_dword v36, off, s[92:95], 0 offset:168 ; 4-byte Folded Reload
	buffer_load_dword v37, off, s[92:95], 0 offset:172 ; 4-byte Folded Reload
	;; [unrolled: 1-line block ×8, first 2 shown]
	v_mul_f64 v[2:3], v[50:51], v[6:7]
	s_waitcnt vmcnt(6)
	v_mul_f64 v[0:1], v[36:37], v[6:7]
	s_waitcnt vmcnt(2)
	v_fma_f64 v[2:3], v[56:57], v[4:5], v[2:3]
	v_fma_f64 v[0:1], v[58:59], v[4:5], v[0:1]
	;; [unrolled: 1-line block ×3, first 2 shown]
	s_waitcnt vmcnt(0)
	v_fma_f64 v[0:1], v[14:15], v[8:9], v[0:1]
	buffer_load_dword v14, off, s[92:95], 0 offset:48 ; 4-byte Folded Reload
	buffer_load_dword v15, off, s[92:95], 0 offset:52 ; 4-byte Folded Reload
	v_fma_f64 v[2:3], v[12:13], v[32:33], v[2:3]
	v_mul_f64 v[2:3], v[28:29], v[2:3]
	s_waitcnt vmcnt(0)
	v_fma_f64 v[0:1], v[14:15], v[32:33], v[0:1]
	v_mul_f64 v[0:1], v[28:29], v[0:1]
	global_store_dwordx4 v[34:35], v[0:3], off offset:16
	buffer_load_dword v40, off, s[92:95], 0 offset:192 ; 4-byte Folded Reload
	buffer_load_dword v41, off, s[92:95], 0 offset:196 ; 4-byte Folded Reload
	v_mul_f64 v[2:3], v[44:45], v[6:7]
	buffer_load_dword v12, off, s[92:95], 0 offset:72 ; 4-byte Folded Reload
	buffer_load_dword v13, off, s[92:95], 0 offset:76 ; 4-byte Folded Reload
	v_fma_f64 v[2:3], v[42:43], v[4:5], v[2:3]
	v_fma_f64 v[2:3], v[60:61], v[8:9], v[2:3]
	buffer_load_dword v60, off, s[92:95], 0 offset:184 ; 4-byte Folded Reload
	buffer_load_dword v61, off, s[92:95], 0 offset:188 ; 4-byte Folded Reload
	v_fma_f64 v[2:3], v[18:19], v[32:33], v[2:3]
	v_mul_f64 v[2:3], v[28:29], v[2:3]
	s_waitcnt vmcnt(4)
	v_mul_f64 v[0:1], v[40:41], v[6:7]
	v_fma_f64 v[0:1], v[52:53], v[4:5], v[0:1]
	v_mov_b32_e32 v53, v17
	v_mov_b32_e32 v52, v16
	s_waitcnt vmcnt(2)
	v_fma_f64 v[0:1], v[12:13], v[8:9], v[0:1]
	s_waitcnt vmcnt(0)
	v_fma_f64 v[0:1], v[60:61], v[32:33], v[0:1]
	v_mul_f64 v[0:1], v[28:29], v[0:1]
	global_store_dwordx4 v[34:35], v[0:3], off offset:32
	buffer_load_dword v50, off, s[92:95], 0 offset:64 ; 4-byte Folded Reload
	buffer_load_dword v51, off, s[92:95], 0 offset:68 ; 4-byte Folded Reload
	v_mul_f64 v[0:1], v[24:25], v[6:7]
	v_mul_f64 v[2:3], v[38:39], v[6:7]
	v_fma_f64 v[2:3], v[16:17], v[4:5], v[2:3]
	v_mov_b32_e32 v16, s3
	v_fma_f64 v[2:3], v[22:23], v[8:9], v[2:3]
	v_mov_b32_e32 v22, v44
	v_mov_b32_e32 v23, v45
	v_fma_f64 v[2:3], v[10:11], v[32:33], v[2:3]
	v_mul_f64 v[2:3], v[28:29], v[2:3]
	s_waitcnt vmcnt(0)
	v_fma_f64 v[0:1], v[50:51], v[4:5], v[0:1]
	v_fma_f64 v[0:1], v[54:55], v[8:9], v[0:1]
	buffer_load_dword v54, off, s[92:95], 0 offset:216 ; 4-byte Folded Reload
	buffer_load_dword v55, off, s[92:95], 0 offset:220 ; 4-byte Folded Reload
	s_waitcnt vmcnt(0)
	v_fma_f64 v[0:1], v[54:55], v[32:33], v[0:1]
	v_mul_f64 v[0:1], v[28:29], v[0:1]
	global_store_dwordx4 v[34:35], v[0:3], off offset:48
	buffer_load_dword v2, off, s[92:95], 0 offset:104 ; 4-byte Folded Reload
	s_nop 0
	buffer_load_dword v3, off, s[92:95], 0 offset:108 ; 4-byte Folded Reload
	buffer_load_dword v4, off, s[92:95], 0 offset:112 ; 4-byte Folded Reload
	;; [unrolled: 1-line block ×9, first 2 shown]
	v_mov_b32_e32 v1, s3
	s_waitcnt vmcnt(9)
	v_add_co_u32_e32 v0, vcc, s2, v2
	s_waitcnt vmcnt(8)
	v_addc_co_u32_e32 v1, vcc, v1, v3, vcc
	v_mov_b32_e32 v3, s3
	s_waitcnt vmcnt(7)
	v_add_co_u32_e32 v2, vcc, s2, v4
	s_waitcnt vmcnt(6)
	v_addc_co_u32_e32 v3, vcc, v3, v5, vcc
	;; [unrolled: 5-line block ×5, first 2 shown]
	buffer_load_dword v10, off, s[92:95], 0 offset:160 ; 4-byte Folded Reload
	buffer_load_dword v11, off, s[92:95], 0 offset:164 ; 4-byte Folded Reload
	s_waitcnt vmcnt(1)
	v_add_co_u32_e32 v14, vcc, s2, v10
	s_waitcnt vmcnt(0)
	v_addc_co_u32_e32 v15, vcc, v16, v11, vcc
	buffer_load_dword v10, off, s[92:95], 0 offset:176 ; 4-byte Folded Reload
	buffer_load_dword v11, off, s[92:95], 0 offset:180 ; 4-byte Folded Reload
	s_waitcnt vmcnt(1)
	v_add_co_u32_e32 v12, vcc, s2, v10
	s_waitcnt vmcnt(0)
	v_addc_co_u32_e32 v13, vcc, v16, v11, vcc
	v_add_co_u32_e32 v10, vcc, s2, v26
	v_addc_co_u32_e32 v11, vcc, v16, v27, vcc
	global_load_dwordx2 v[26:27], v[2:3], off
	global_load_dwordx2 v[28:29], v[0:1], off
	;; [unrolled: 1-line block ×4, first 2 shown]
	s_nop 0
	global_load_dwordx2 v[8:9], v[8:9], off
	s_nop 0
	global_load_dwordx2 v[14:15], v[14:15], off
	;; [unrolled: 2-line block ×4, first 2 shown]
	s_nop 0
	buffer_load_dword v18, off, s[92:95], 0 offset:248 ; 4-byte Folded Reload
	buffer_load_dword v19, off, s[92:95], 0 offset:252 ; 4-byte Folded Reload
	v_mov_b32_e32 v0, v36
	v_mov_b32_e32 v1, v37
	;; [unrolled: 1-line block ×6, first 2 shown]
	s_waitcnt vmcnt(9)
	v_mul_f64 v[16:17], v[26:27], v[48:49]
	s_waitcnt vmcnt(0)
	v_fma_f64 v[16:17], v[28:29], v[18:19], v[16:17]
	v_fma_f64 v[16:17], v[30:31], v[0:1], v[16:17]
	;; [unrolled: 1-line block ×7, first 2 shown]
	v_mul_f64 v[36:37], v[46:47], v[16:17]
	buffer_load_dword v46, off, s[92:95], 0 offset:96 ; 4-byte Folded Reload
	buffer_load_dword v47, off, s[92:95], 0 offset:100 ; 4-byte Folded Reload
	v_mul_f64 v[20:21], v[48:49], v[16:17]
	buffer_load_dword v48, off, s[92:95], 0 offset:256 ; 4-byte Folded Reload
	buffer_load_dword v49, off, s[92:95], 0 offset:260 ; 4-byte Folded Reload
	;; [unrolled: 1-line block ×4, first 2 shown]
	v_mul_f64 v[34:35], v[24:25], v[16:17]
	v_mul_f64 v[18:19], v[18:19], v[16:17]
	;; [unrolled: 1-line block ×6, first 2 shown]
	s_waitcnt vmcnt(4)
	v_mul_f64 v[24:25], v[26:27], v[46:47]
	s_waitcnt vmcnt(2)
	v_fma_f64 v[24:25], v[28:29], v[48:49], v[24:25]
	v_fma_f64 v[24:25], v[30:31], v[58:59], v[24:25]
	;; [unrolled: 1-line block ×3, first 2 shown]
	s_waitcnt vmcnt(0)
	v_fma_f64 v[24:25], v[8:9], v[2:3], v[24:25]
	v_fma_f64 v[24:25], v[14:15], v[42:43], v[24:25]
	;; [unrolled: 1-line block ×5, first 2 shown]
	buffer_store_dword v6, off, s[92:95], 0 offset:104 ; 4-byte Folded Spill
	s_nop 0
	buffer_store_dword v7, off, s[92:95], 0 offset:108 ; 4-byte Folded Spill
	v_fma_f64 v[6:7], v[58:59], v[24:25], v[44:45]
	v_fma_f64 v[0:1], v[2:3], v[24:25], v[38:39]
	buffer_store_dword v6, off, s[92:95], 0 offset:96 ; 4-byte Folded Spill
	s_nop 0
	buffer_store_dword v7, off, s[92:95], 0 offset:100 ; 4-byte Folded Spill
	buffer_store_dword v0, off, s[92:95], 0 offset:40 ; 4-byte Folded Spill
	s_nop 0
	buffer_store_dword v1, off, s[92:95], 0 offset:44 ; 4-byte Folded Spill
	buffer_load_dword v18, off, s[92:95], 0 offset:88 ; 4-byte Folded Reload
	buffer_load_dword v19, off, s[92:95], 0 offset:92 ; 4-byte Folded Reload
	;; [unrolled: 1-line block ×6, first 2 shown]
	v_fma_f64 v[20:21], v[46:47], v[24:25], v[20:21]
	v_fma_f64 v[42:43], v[42:43], v[24:25], v[40:41]
	buffer_load_dword v40, off, s[92:95], 0 offset:272 ; 4-byte Folded Reload
	buffer_load_dword v41, off, s[92:95], 0 offset:276 ; 4-byte Folded Reload
	;; [unrolled: 1-line block ×4, first 2 shown]
	v_fma_f64 v[36:37], v[56:57], v[24:25], v[36:37]
	v_fma_f64 v[34:35], v[50:51], v[24:25], v[34:35]
	;; [unrolled: 1-line block ×3, first 2 shown]
	v_mov_b32_e32 v50, v60
	v_mov_b32_e32 v51, v61
	s_waitcnt vmcnt(8)
	v_mul_f64 v[24:25], v[26:27], v[18:19]
	s_waitcnt vmcnt(6)
	v_mul_f64 v[2:3], v[26:27], v[38:39]
	s_waitcnt vmcnt(4)
	v_fma_f64 v[24:25], v[28:29], v[44:45], v[24:25]
	s_waitcnt vmcnt(2)
	v_fma_f64 v[0:1], v[28:29], v[40:41], v[2:3]
	;; [unrolled: 2-line block ×3, first 2 shown]
	buffer_load_dword v24, off, s[92:95], 0 offset:48 ; 4-byte Folded Reload
	buffer_load_dword v25, off, s[92:95], 0 offset:52 ; 4-byte Folded Reload
	;; [unrolled: 1-line block ×16, first 2 shown]
	s_waitcnt vmcnt(14)
	v_fma_f64 v[0:1], v[30:31], v[24:25], v[0:1]
	s_waitcnt vmcnt(12)
	v_fma_f64 v[2:3], v[32:33], v[56:57], v[2:3]
	;; [unrolled: 2-line block ×4, first 2 shown]
	v_fma_f64 v[0:1], v[8:9], v[50:51], v[0:1]
	buffer_load_dword v8, off, s[92:95], 0 offset:104 ; 4-byte Folded Reload
	buffer_load_dword v9, off, s[92:95], 0 offset:108 ; 4-byte Folded Reload
	s_waitcnt vmcnt(8)
	v_fma_f64 v[2:3], v[14:15], v[60:61], v[2:3]
	s_waitcnt vmcnt(6)
	v_fma_f64 v[0:1], v[14:15], v[52:53], v[0:1]
	;; [unrolled: 2-line block ×3, first 2 shown]
	v_fma_f64 v[0:1], v[12:13], v[54:55], v[0:1]
	s_waitcnt vmcnt(2)
	v_fma_f64 v[2:3], v[10:11], v[6:7], v[2:3]
	v_fma_f64 v[20:21], v[18:19], v[2:3], v[20:21]
	;; [unrolled: 1-line block ×4, first 2 shown]
	s_waitcnt vmcnt(0)
	v_fma_f64 v[16:17], v[44:45], v[2:3], v[8:9]
	buffer_load_dword v44, off, s[92:95], 0 offset:304 ; 4-byte Folded Reload
	buffer_load_dword v45, off, s[92:95], 0 offset:308 ; 4-byte Folded Reload
	;; [unrolled: 1-line block ×6, first 2 shown]
	s_waitcnt vmcnt(4)
	v_fma_f64 v[0:1], v[10:11], v[44:45], v[0:1]
	s_waitcnt vmcnt(2)
	v_fma_f64 v[8:9], v[46:47], v[2:3], v[8:9]
	v_fma_f64 v[10:11], v[56:57], v[2:3], v[36:37]
	s_waitcnt vmcnt(0)
	v_fma_f64 v[12:13], v[58:59], v[2:3], v[12:13]
	v_fma_f64 v[2:3], v[6:7], v[2:3], v[22:23]
	;; [unrolled: 1-line block ×3, first 2 shown]
	buffer_load_dword v20, off, s[92:95], 0 offset:208 ; 4-byte Folded Reload
	buffer_load_dword v21, off, s[92:95], 0 offset:212 ; 4-byte Folded Reload
	v_fma_f64 v[4:5], v[40:41], v[0:1], v[16:17]
	v_fma_f64 v[10:11], v[48:49], v[0:1], v[10:11]
	v_fma_f64 v[12:13], v[50:51], v[0:1], v[12:13]
	v_fma_f64 v[14:15], v[52:53], v[0:1], v[14:15]
	v_fma_f64 v[16:17], v[54:55], v[0:1], v[18:19]
	v_fma_f64 v[18:19], v[44:45], v[0:1], v[2:3]
	v_fma_f64 v[8:9], v[24:25], v[0:1], v[8:9]
	s_waitcnt vmcnt(0)
	v_mul_f64 v[2:3], v[20:21], v[6:7]
	v_mul_f64 v[6:7], v[20:21], v[10:11]
	;; [unrolled: 1-line block ×6, first 2 shown]
	buffer_load_dword v18, off, s[92:95], 0 offset:32 ; 4-byte Folded Reload
	buffer_load_dword v19, off, s[92:95], 0 offset:36 ; 4-byte Folded Reload
	v_mul_f64 v[0:1], v[20:21], v[4:5]
	v_mul_f64 v[4:5], v[20:21], v[8:9]
	v_mov_b32_e32 v9, s5
	s_waitcnt vmcnt(1)
	v_add_co_u32_e32 v8, vcc, s4, v18
	s_waitcnt vmcnt(0)
	v_addc_co_u32_e32 v9, vcc, v9, v19, vcc
	global_store_dwordx4 v[8:9], v[0:3], off
	global_store_dwordx4 v[8:9], v[4:7], off offset:16
	global_store_dwordx4 v[8:9], v[10:13], off offset:32
	;; [unrolled: 1-line block ×3, first 2 shown]
.LBB4_2:
	s_endpgm
	.section	.rodata,"a",@progbits
	.p2align	6, 0x0
	.amdhsa_kernel _Z2fbPKdS0_S0_S0_S0_S0_S0_S0_S0_S0_S0_S0_PKiS0_PdS3_S3_di
		.amdhsa_group_segment_fixed_size 0
		.amdhsa_private_segment_fixed_size 380
		.amdhsa_kernarg_size 408
		.amdhsa_user_sgpr_count 6
		.amdhsa_user_sgpr_private_segment_buffer 1
		.amdhsa_user_sgpr_dispatch_ptr 0
		.amdhsa_user_sgpr_queue_ptr 0
		.amdhsa_user_sgpr_kernarg_segment_ptr 1
		.amdhsa_user_sgpr_dispatch_id 0
		.amdhsa_user_sgpr_flat_scratch_init 0
		.amdhsa_user_sgpr_private_segment_size 0
		.amdhsa_uses_dynamic_stack 0
		.amdhsa_system_sgpr_private_segment_wavefront_offset 1
		.amdhsa_system_sgpr_workgroup_id_x 1
		.amdhsa_system_sgpr_workgroup_id_y 0
		.amdhsa_system_sgpr_workgroup_id_z 0
		.amdhsa_system_sgpr_workgroup_info 0
		.amdhsa_system_vgpr_workitem_id 0
		.amdhsa_next_free_vgpr 63
		.amdhsa_next_free_sgpr 96
		.amdhsa_reserve_vcc 1
		.amdhsa_reserve_flat_scratch 0
		.amdhsa_float_round_mode_32 0
		.amdhsa_float_round_mode_16_64 0
		.amdhsa_float_denorm_mode_32 3
		.amdhsa_float_denorm_mode_16_64 3
		.amdhsa_dx10_clamp 1
		.amdhsa_ieee_mode 1
		.amdhsa_fp16_overflow 0
		.amdhsa_exception_fp_ieee_invalid_op 0
		.amdhsa_exception_fp_denorm_src 0
		.amdhsa_exception_fp_ieee_div_zero 0
		.amdhsa_exception_fp_ieee_overflow 0
		.amdhsa_exception_fp_ieee_underflow 0
		.amdhsa_exception_fp_ieee_inexact 0
		.amdhsa_exception_int_div_zero 0
	.end_amdhsa_kernel
	.text
.Lfunc_end4:
	.size	_Z2fbPKdS0_S0_S0_S0_S0_S0_S0_S0_S0_S0_S0_PKiS0_PdS3_S3_di, .Lfunc_end4-_Z2fbPKdS0_S0_S0_S0_S0_S0_S0_S0_S0_S0_S0_PKiS0_PdS3_S3_di
                                        ; -- End function
	.set _Z2fbPKdS0_S0_S0_S0_S0_S0_S0_S0_S0_S0_S0_PKiS0_PdS3_S3_di.num_vgpr, 63
	.set _Z2fbPKdS0_S0_S0_S0_S0_S0_S0_S0_S0_S0_S0_PKiS0_PdS3_S3_di.num_agpr, 0
	.set _Z2fbPKdS0_S0_S0_S0_S0_S0_S0_S0_S0_S0_S0_PKiS0_PdS3_S3_di.numbered_sgpr, 96
	.set _Z2fbPKdS0_S0_S0_S0_S0_S0_S0_S0_S0_S0_S0_PKiS0_PdS3_S3_di.num_named_barrier, 0
	.set _Z2fbPKdS0_S0_S0_S0_S0_S0_S0_S0_S0_S0_S0_PKiS0_PdS3_S3_di.private_seg_size, 380
	.set _Z2fbPKdS0_S0_S0_S0_S0_S0_S0_S0_S0_S0_S0_PKiS0_PdS3_S3_di.uses_vcc, 1
	.set _Z2fbPKdS0_S0_S0_S0_S0_S0_S0_S0_S0_S0_S0_PKiS0_PdS3_S3_di.uses_flat_scratch, 0
	.set _Z2fbPKdS0_S0_S0_S0_S0_S0_S0_S0_S0_S0_S0_PKiS0_PdS3_S3_di.has_dyn_sized_stack, 0
	.set _Z2fbPKdS0_S0_S0_S0_S0_S0_S0_S0_S0_S0_S0_PKiS0_PdS3_S3_di.has_recursion, 0
	.set _Z2fbPKdS0_S0_S0_S0_S0_S0_S0_S0_S0_S0_S0_PKiS0_PdS3_S3_di.has_indirect_call, 0
	.section	.AMDGPU.csdata,"",@progbits
; Kernel info:
; codeLenInByte = 10380
; TotalNumSgprs: 100
; NumVgprs: 63
; ScratchSize: 380
; MemoryBound: 0
; FloatMode: 240
; IeeeMode: 1
; LDSByteSize: 0 bytes/workgroup (compile time only)
; SGPRBlocks: 12
; VGPRBlocks: 15
; NumSGPRsForWavesPerEU: 100
; NumVGPRsForWavesPerEU: 63
; Occupancy: 4
; WaveLimiterHint : 1
; COMPUTE_PGM_RSRC2:SCRATCH_EN: 1
; COMPUTE_PGM_RSRC2:USER_SGPR: 6
; COMPUTE_PGM_RSRC2:TRAP_HANDLER: 0
; COMPUTE_PGM_RSRC2:TGID_X_EN: 1
; COMPUTE_PGM_RSRC2:TGID_Y_EN: 0
; COMPUTE_PGM_RSRC2:TGID_Z_EN: 0
; COMPUTE_PGM_RSRC2:TIDIG_COMP_CNT: 0
	.text
	.protected	_Z19collect_final_forcePKdS0_S0_PdS1_S1_PKiS3_i ; -- Begin function _Z19collect_final_forcePKdS0_S0_PdS1_S1_PKiS3_i
	.globl	_Z19collect_final_forcePKdS0_S0_PdS1_S1_PKiS3_i
	.p2align	8
	.type	_Z19collect_final_forcePKdS0_S0_PdS1_S1_PKiS3_i,@function
_Z19collect_final_forcePKdS0_S0_PdS1_S1_PKiS3_i: ; @_Z19collect_final_forcePKdS0_S0_PdS1_S1_PKiS3_i
; %bb.0:
	s_load_dword s0, s[4:5], 0x54
	s_load_dword s1, s[4:5], 0x40
	s_waitcnt lgkmcnt(0)
	s_and_b32 s0, s0, 0xffff
	s_mul_i32 s6, s6, s0
	v_add_u32_e32 v0, s6, v0
	v_cmp_gt_i32_e32 vcc, s1, v0
	s_and_saveexec_b64 s[0:1], vcc
	s_cbranch_execz .LBB5_6
; %bb.1:
	s_load_dwordx8 s[8:15], s[4:5], 0x18
	v_ashrrev_i32_e32 v1, 31, v0
	v_lshlrev_b64 v[2:3], 2, v[0:1]
	v_mov_b32_e32 v6, 0
	v_mov_b32_e32 v7, 0
	s_waitcnt lgkmcnt(0)
	v_mov_b32_e32 v4, s15
	v_add_co_u32_e32 v2, vcc, s14, v2
	v_addc_co_u32_e32 v3, vcc, v4, v3, vcc
	global_load_dwordx2 v[8:9], v[2:3], off
	v_mov_b32_e32 v2, 0
	v_mov_b32_e32 v4, 0
	s_mov_b32 s14, 0
	v_mov_b32_e32 v3, 0
	v_mov_b32_e32 v5, 0
	s_waitcnt vmcnt(0)
	v_sub_u32_e32 v10, v9, v8
	v_cmp_lt_i32_e32 vcc, 0, v10
	s_and_saveexec_b64 s[2:3], vcc
	s_cbranch_execz .LBB5_5
; %bb.2:
	s_load_dwordx2 s[0:1], s[4:5], 0x38
	s_load_dwordx4 s[16:19], s[4:5], 0x0
	s_load_dwordx2 s[6:7], s[4:5], 0x10
	v_ashrrev_i32_e32 v9, 31, v8
	v_lshlrev_b64 v[2:3], 2, v[8:9]
	s_waitcnt lgkmcnt(0)
	v_mov_b32_e32 v4, s1
	v_add_co_u32_e32 v8, vcc, s0, v2
	v_addc_co_u32_e32 v9, vcc, v4, v3, vcc
	v_mov_b32_e32 v2, 0
	v_mov_b32_e32 v4, 0
	;; [unrolled: 1-line block ×4, first 2 shown]
	s_mov_b64 s[4:5], 0
	v_mov_b32_e32 v11, s17
	v_mov_b32_e32 v12, s19
	;; [unrolled: 1-line block ×5, first 2 shown]
.LBB5_3:                                ; =>This Inner Loop Header: Depth=1
	global_load_dword v14, v[8:9], off
	s_add_i32 s14, s14, 1
	v_cmp_ge_i32_e64 s[0:1], s14, v10
	s_or_b64 s[4:5], s[0:1], s[4:5]
	s_waitcnt vmcnt(0)
	v_ashrrev_i32_e32 v15, 31, v14
	v_lshlrev_b64 v[14:15], 3, v[14:15]
	v_add_co_u32_e32 v16, vcc, s16, v14
	v_addc_co_u32_e32 v17, vcc, v11, v15, vcc
	v_add_co_u32_e32 v18, vcc, s18, v14
	v_addc_co_u32_e32 v19, vcc, v12, v15, vcc
	;; [unrolled: 2-line block ×3, first 2 shown]
	global_load_dwordx2 v[20:21], v[16:17], off
	global_load_dwordx2 v[22:23], v[18:19], off
	;; [unrolled: 1-line block ×3, first 2 shown]
	v_add_co_u32_e32 v8, vcc, 4, v8
	v_addc_co_u32_e32 v9, vcc, 0, v9, vcc
	s_waitcnt vmcnt(2)
	v_add_f64 v[6:7], v[6:7], v[20:21]
	s_waitcnt vmcnt(1)
	v_add_f64 v[4:5], v[4:5], v[22:23]
	;; [unrolled: 2-line block ×3, first 2 shown]
	s_andn2_b64 exec, exec, s[4:5]
	s_cbranch_execnz .LBB5_3
; %bb.4:
	s_or_b64 exec, exec, s[4:5]
.LBB5_5:
	s_or_b64 exec, exec, s[2:3]
	v_lshlrev_b64 v[0:1], 3, v[0:1]
	v_mov_b32_e32 v9, s9
	v_add_co_u32_e32 v8, vcc, s8, v0
	v_addc_co_u32_e32 v9, vcc, v9, v1, vcc
	global_store_dwordx2 v[8:9], v[6:7], off
	v_mov_b32_e32 v7, s11
	v_add_co_u32_e32 v6, vcc, s10, v0
	v_addc_co_u32_e32 v7, vcc, v7, v1, vcc
	global_store_dwordx2 v[6:7], v[4:5], off
	;; [unrolled: 4-line block ×3, first 2 shown]
.LBB5_6:
	s_endpgm
	.section	.rodata,"a",@progbits
	.p2align	6, 0x0
	.amdhsa_kernel _Z19collect_final_forcePKdS0_S0_PdS1_S1_PKiS3_i
		.amdhsa_group_segment_fixed_size 0
		.amdhsa_private_segment_fixed_size 0
		.amdhsa_kernarg_size 328
		.amdhsa_user_sgpr_count 6
		.amdhsa_user_sgpr_private_segment_buffer 1
		.amdhsa_user_sgpr_dispatch_ptr 0
		.amdhsa_user_sgpr_queue_ptr 0
		.amdhsa_user_sgpr_kernarg_segment_ptr 1
		.amdhsa_user_sgpr_dispatch_id 0
		.amdhsa_user_sgpr_flat_scratch_init 0
		.amdhsa_user_sgpr_private_segment_size 0
		.amdhsa_uses_dynamic_stack 0
		.amdhsa_system_sgpr_private_segment_wavefront_offset 0
		.amdhsa_system_sgpr_workgroup_id_x 1
		.amdhsa_system_sgpr_workgroup_id_y 0
		.amdhsa_system_sgpr_workgroup_id_z 0
		.amdhsa_system_sgpr_workgroup_info 0
		.amdhsa_system_vgpr_workitem_id 0
		.amdhsa_next_free_vgpr 26
		.amdhsa_next_free_sgpr 20
		.amdhsa_reserve_vcc 1
		.amdhsa_reserve_flat_scratch 0
		.amdhsa_float_round_mode_32 0
		.amdhsa_float_round_mode_16_64 0
		.amdhsa_float_denorm_mode_32 3
		.amdhsa_float_denorm_mode_16_64 3
		.amdhsa_dx10_clamp 1
		.amdhsa_ieee_mode 1
		.amdhsa_fp16_overflow 0
		.amdhsa_exception_fp_ieee_invalid_op 0
		.amdhsa_exception_fp_denorm_src 0
		.amdhsa_exception_fp_ieee_div_zero 0
		.amdhsa_exception_fp_ieee_overflow 0
		.amdhsa_exception_fp_ieee_underflow 0
		.amdhsa_exception_fp_ieee_inexact 0
		.amdhsa_exception_int_div_zero 0
	.end_amdhsa_kernel
	.text
.Lfunc_end5:
	.size	_Z19collect_final_forcePKdS0_S0_PdS1_S1_PKiS3_i, .Lfunc_end5-_Z19collect_final_forcePKdS0_S0_PdS1_S1_PKiS3_i
                                        ; -- End function
	.set _Z19collect_final_forcePKdS0_S0_PdS1_S1_PKiS3_i.num_vgpr, 26
	.set _Z19collect_final_forcePKdS0_S0_PdS1_S1_PKiS3_i.num_agpr, 0
	.set _Z19collect_final_forcePKdS0_S0_PdS1_S1_PKiS3_i.numbered_sgpr, 20
	.set _Z19collect_final_forcePKdS0_S0_PdS1_S1_PKiS3_i.num_named_barrier, 0
	.set _Z19collect_final_forcePKdS0_S0_PdS1_S1_PKiS3_i.private_seg_size, 0
	.set _Z19collect_final_forcePKdS0_S0_PdS1_S1_PKiS3_i.uses_vcc, 1
	.set _Z19collect_final_forcePKdS0_S0_PdS1_S1_PKiS3_i.uses_flat_scratch, 0
	.set _Z19collect_final_forcePKdS0_S0_PdS1_S1_PKiS3_i.has_dyn_sized_stack, 0
	.set _Z19collect_final_forcePKdS0_S0_PdS1_S1_PKiS3_i.has_recursion, 0
	.set _Z19collect_final_forcePKdS0_S0_PdS1_S1_PKiS3_i.has_indirect_call, 0
	.section	.AMDGPU.csdata,"",@progbits
; Kernel info:
; codeLenInByte = 452
; TotalNumSgprs: 24
; NumVgprs: 26
; ScratchSize: 0
; MemoryBound: 0
; FloatMode: 240
; IeeeMode: 1
; LDSByteSize: 0 bytes/workgroup (compile time only)
; SGPRBlocks: 2
; VGPRBlocks: 6
; NumSGPRsForWavesPerEU: 24
; NumVGPRsForWavesPerEU: 26
; Occupancy: 9
; WaveLimiterHint : 1
; COMPUTE_PGM_RSRC2:SCRATCH_EN: 0
; COMPUTE_PGM_RSRC2:USER_SGPR: 6
; COMPUTE_PGM_RSRC2:TRAP_HANDLER: 0
; COMPUTE_PGM_RSRC2:TGID_X_EN: 1
; COMPUTE_PGM_RSRC2:TGID_Y_EN: 0
; COMPUTE_PGM_RSRC2:TGID_Z_EN: 0
; COMPUTE_PGM_RSRC2:TIDIG_COMP_CNT: 0
	.text
	.protected	_Z19accelerationForNodePKdS0_S0_S0_PdS1_S1_i ; -- Begin function _Z19accelerationForNodePKdS0_S0_S0_PdS1_S1_i
	.globl	_Z19accelerationForNodePKdS0_S0_S0_PdS1_S1_i
	.p2align	8
	.type	_Z19accelerationForNodePKdS0_S0_S0_PdS1_S1_i,@function
_Z19accelerationForNodePKdS0_S0_S0_PdS1_S1_i: ; @_Z19accelerationForNodePKdS0_S0_S0_PdS1_S1_i
; %bb.0:
	s_load_dword s0, s[4:5], 0x4c
	s_load_dword s1, s[4:5], 0x38
	s_waitcnt lgkmcnt(0)
	s_and_b32 s0, s0, 0xffff
	s_mul_i32 s6, s6, s0
	v_add_u32_e32 v0, s6, v0
	v_cmp_gt_i32_e32 vcc, s1, v0
	s_and_saveexec_b64 s[0:1], vcc
	s_cbranch_execz .LBB6_2
; %bb.1:
	s_load_dwordx8 s[8:15], s[4:5], 0x0
	v_ashrrev_i32_e32 v1, 31, v0
	v_lshlrev_b64 v[0:1], 3, v[0:1]
	s_waitcnt lgkmcnt(0)
	v_mov_b32_e32 v3, s15
	v_add_co_u32_e32 v2, vcc, s14, v0
	v_addc_co_u32_e32 v3, vcc, v3, v1, vcc
	global_load_dwordx2 v[2:3], v[2:3], off
	v_mov_b32_e32 v7, s9
	v_add_co_u32_e32 v6, vcc, s8, v0
	v_addc_co_u32_e32 v7, vcc, v7, v1, vcc
	v_mov_b32_e32 v11, s11
	v_add_co_u32_e32 v10, vcc, s10, v0
	v_addc_co_u32_e32 v11, vcc, v11, v1, vcc
	v_mov_b32_e32 v13, s13
	v_add_co_u32_e32 v12, vcc, s12, v0
	v_addc_co_u32_e32 v13, vcc, v13, v1, vcc
	global_load_dwordx2 v[14:15], v[6:7], off
	global_load_dwordx2 v[16:17], v[10:11], off
	;; [unrolled: 1-line block ×3, first 2 shown]
	s_waitcnt vmcnt(3)
	v_div_scale_f64 v[4:5], s[0:1], v[2:3], v[2:3], 1.0
	s_load_dwordx4 s[0:3], s[4:5], 0x20
	s_load_dwordx2 s[6:7], s[4:5], 0x30
	s_waitcnt lgkmcnt(0)
	v_mov_b32_e32 v12, s7
	v_rcp_f64_e32 v[8:9], v[4:5]
	v_fma_f64 v[6:7], -v[4:5], v[8:9], 1.0
	v_fma_f64 v[6:7], v[8:9], v[6:7], v[8:9]
	v_div_scale_f64 v[8:9], vcc, 1.0, v[2:3], 1.0
	v_fma_f64 v[10:11], -v[4:5], v[6:7], 1.0
	v_fma_f64 v[6:7], v[6:7], v[10:11], v[6:7]
	v_mul_f64 v[10:11], v[8:9], v[6:7]
	v_fma_f64 v[4:5], -v[4:5], v[10:11], v[8:9]
	v_div_fmas_f64 v[4:5], v[4:5], v[6:7], v[10:11]
	v_mov_b32_e32 v11, s3
	v_div_fixup_f64 v[2:3], v[4:5], v[2:3], 1.0
	v_mov_b32_e32 v5, s1
	v_add_co_u32_e32 v4, vcc, s0, v0
	v_addc_co_u32_e32 v5, vcc, v5, v1, vcc
	v_add_co_u32_e32 v10, vcc, s2, v0
	s_waitcnt vmcnt(2)
	v_mul_f64 v[6:7], v[14:15], v[2:3]
	s_waitcnt vmcnt(1)
	v_mul_f64 v[8:9], v[2:3], v[16:17]
	;; [unrolled: 2-line block ×3, first 2 shown]
	v_addc_co_u32_e32 v11, vcc, v11, v1, vcc
	v_add_co_u32_e32 v0, vcc, s6, v0
	v_addc_co_u32_e32 v1, vcc, v12, v1, vcc
	global_store_dwordx2 v[4:5], v[6:7], off
	global_store_dwordx2 v[10:11], v[8:9], off
	;; [unrolled: 1-line block ×3, first 2 shown]
.LBB6_2:
	s_endpgm
	.section	.rodata,"a",@progbits
	.p2align	6, 0x0
	.amdhsa_kernel _Z19accelerationForNodePKdS0_S0_S0_PdS1_S1_i
		.amdhsa_group_segment_fixed_size 0
		.amdhsa_private_segment_fixed_size 0
		.amdhsa_kernarg_size 320
		.amdhsa_user_sgpr_count 6
		.amdhsa_user_sgpr_private_segment_buffer 1
		.amdhsa_user_sgpr_dispatch_ptr 0
		.amdhsa_user_sgpr_queue_ptr 0
		.amdhsa_user_sgpr_kernarg_segment_ptr 1
		.amdhsa_user_sgpr_dispatch_id 0
		.amdhsa_user_sgpr_flat_scratch_init 0
		.amdhsa_user_sgpr_private_segment_size 0
		.amdhsa_uses_dynamic_stack 0
		.amdhsa_system_sgpr_private_segment_wavefront_offset 0
		.amdhsa_system_sgpr_workgroup_id_x 1
		.amdhsa_system_sgpr_workgroup_id_y 0
		.amdhsa_system_sgpr_workgroup_id_z 0
		.amdhsa_system_sgpr_workgroup_info 0
		.amdhsa_system_vgpr_workitem_id 0
		.amdhsa_next_free_vgpr 20
		.amdhsa_next_free_sgpr 16
		.amdhsa_reserve_vcc 1
		.amdhsa_reserve_flat_scratch 0
		.amdhsa_float_round_mode_32 0
		.amdhsa_float_round_mode_16_64 0
		.amdhsa_float_denorm_mode_32 3
		.amdhsa_float_denorm_mode_16_64 3
		.amdhsa_dx10_clamp 1
		.amdhsa_ieee_mode 1
		.amdhsa_fp16_overflow 0
		.amdhsa_exception_fp_ieee_invalid_op 0
		.amdhsa_exception_fp_denorm_src 0
		.amdhsa_exception_fp_ieee_div_zero 0
		.amdhsa_exception_fp_ieee_overflow 0
		.amdhsa_exception_fp_ieee_underflow 0
		.amdhsa_exception_fp_ieee_inexact 0
		.amdhsa_exception_int_div_zero 0
	.end_amdhsa_kernel
	.text
.Lfunc_end6:
	.size	_Z19accelerationForNodePKdS0_S0_S0_PdS1_S1_i, .Lfunc_end6-_Z19accelerationForNodePKdS0_S0_S0_PdS1_S1_i
                                        ; -- End function
	.set _Z19accelerationForNodePKdS0_S0_S0_PdS1_S1_i.num_vgpr, 20
	.set _Z19accelerationForNodePKdS0_S0_S0_PdS1_S1_i.num_agpr, 0
	.set _Z19accelerationForNodePKdS0_S0_S0_PdS1_S1_i.numbered_sgpr, 16
	.set _Z19accelerationForNodePKdS0_S0_S0_PdS1_S1_i.num_named_barrier, 0
	.set _Z19accelerationForNodePKdS0_S0_S0_PdS1_S1_i.private_seg_size, 0
	.set _Z19accelerationForNodePKdS0_S0_S0_PdS1_S1_i.uses_vcc, 1
	.set _Z19accelerationForNodePKdS0_S0_S0_PdS1_S1_i.uses_flat_scratch, 0
	.set _Z19accelerationForNodePKdS0_S0_S0_PdS1_S1_i.has_dyn_sized_stack, 0
	.set _Z19accelerationForNodePKdS0_S0_S0_PdS1_S1_i.has_recursion, 0
	.set _Z19accelerationForNodePKdS0_S0_S0_PdS1_S1_i.has_indirect_call, 0
	.section	.AMDGPU.csdata,"",@progbits
; Kernel info:
; codeLenInByte = 360
; TotalNumSgprs: 20
; NumVgprs: 20
; ScratchSize: 0
; MemoryBound: 0
; FloatMode: 240
; IeeeMode: 1
; LDSByteSize: 0 bytes/workgroup (compile time only)
; SGPRBlocks: 2
; VGPRBlocks: 4
; NumSGPRsForWavesPerEU: 20
; NumVGPRsForWavesPerEU: 20
; Occupancy: 10
; WaveLimiterHint : 0
; COMPUTE_PGM_RSRC2:SCRATCH_EN: 0
; COMPUTE_PGM_RSRC2:USER_SGPR: 6
; COMPUTE_PGM_RSRC2:TRAP_HANDLER: 0
; COMPUTE_PGM_RSRC2:TGID_X_EN: 1
; COMPUTE_PGM_RSRC2:TGID_Y_EN: 0
; COMPUTE_PGM_RSRC2:TGID_Z_EN: 0
; COMPUTE_PGM_RSRC2:TIDIG_COMP_CNT: 0
	.text
	.protected	_Z43applyAccelerationBoundaryConditionsForNodesPKiS0_S0_PdS1_S1_iiii ; -- Begin function _Z43applyAccelerationBoundaryConditionsForNodesPKiS0_S0_PdS1_S1_iiii
	.globl	_Z43applyAccelerationBoundaryConditionsForNodesPKiS0_S0_PdS1_S1_iiii
	.p2align	8
	.type	_Z43applyAccelerationBoundaryConditionsForNodesPKiS0_S0_PdS1_S1_iiii,@function
_Z43applyAccelerationBoundaryConditionsForNodesPKiS0_S0_PdS1_S1_iiii: ; @_Z43applyAccelerationBoundaryConditionsForNodesPKiS0_S0_PdS1_S1_iiii
; %bb.0:
	s_load_dword s7, s[4:5], 0x4c
	s_load_dwordx4 s[0:3], s[4:5], 0x30
	s_waitcnt lgkmcnt(0)
	s_and_b32 s7, s7, 0xffff
	s_mul_i32 s6, s6, s7
	v_add_u32_e32 v0, s6, v0
	v_cmp_gt_i32_e32 vcc, s3, v0
	s_and_saveexec_b64 s[6:7], vcc
	s_cbranch_execz .LBB7_4
; %bb.1:
	s_cmp_lg_u32 s0, 0
	s_cbranch_scc0 .LBB7_5
; %bb.2:
	s_cmp_lg_u32 s1, 0
	s_cbranch_scc0 .LBB7_6
.LBB7_3:
	s_cmp_lg_u32 s2, 0
	s_cbranch_scc0 .LBB7_7
.LBB7_4:
	s_endpgm
.LBB7_5:
	s_load_dwordx2 s[6:7], s[4:5], 0x0
	s_load_dwordx2 s[8:9], s[4:5], 0x18
	v_ashrrev_i32_e32 v1, 31, v0
	v_lshlrev_b64 v[1:2], 2, v[0:1]
	s_waitcnt lgkmcnt(0)
	v_mov_b32_e32 v3, s7
	v_add_co_u32_e32 v1, vcc, s6, v1
	v_addc_co_u32_e32 v2, vcc, v3, v2, vcc
	global_load_dword v1, v[1:2], off
	v_mov_b32_e32 v3, 0
	v_mov_b32_e32 v4, s9
	s_waitcnt vmcnt(0)
	v_ashrrev_i32_e32 v2, 31, v1
	v_lshlrev_b64 v[1:2], 3, v[1:2]
	v_add_co_u32_e32 v1, vcc, s8, v1
	v_addc_co_u32_e32 v2, vcc, v4, v2, vcc
	v_mov_b32_e32 v4, v3
	global_store_dwordx2 v[1:2], v[3:4], off
	s_cmp_lg_u32 s1, 0
	s_cbranch_scc1 .LBB7_3
.LBB7_6:
	s_load_dwordx2 s[0:1], s[4:5], 0x8
	s_load_dwordx2 s[6:7], s[4:5], 0x20
	v_ashrrev_i32_e32 v1, 31, v0
	v_lshlrev_b64 v[1:2], 2, v[0:1]
	s_waitcnt lgkmcnt(0)
	v_mov_b32_e32 v3, s1
	v_add_co_u32_e32 v1, vcc, s0, v1
	v_addc_co_u32_e32 v2, vcc, v3, v2, vcc
	global_load_dword v1, v[1:2], off
	v_mov_b32_e32 v3, 0
	v_mov_b32_e32 v4, s7
	s_waitcnt vmcnt(0)
	v_ashrrev_i32_e32 v2, 31, v1
	v_lshlrev_b64 v[1:2], 3, v[1:2]
	v_add_co_u32_e32 v1, vcc, s6, v1
	v_addc_co_u32_e32 v2, vcc, v4, v2, vcc
	v_mov_b32_e32 v4, v3
	global_store_dwordx2 v[1:2], v[3:4], off
	s_cmp_lg_u32 s2, 0
	s_cbranch_scc1 .LBB7_4
.LBB7_7:
	s_load_dwordx2 s[0:1], s[4:5], 0x10
	s_load_dwordx2 s[2:3], s[4:5], 0x28
	v_ashrrev_i32_e32 v1, 31, v0
	v_lshlrev_b64 v[0:1], 2, v[0:1]
	s_waitcnt lgkmcnt(0)
	v_mov_b32_e32 v2, s1
	v_add_co_u32_e32 v0, vcc, s0, v0
	v_addc_co_u32_e32 v1, vcc, v2, v1, vcc
	global_load_dword v0, v[0:1], off
	v_mov_b32_e32 v2, 0
	v_mov_b32_e32 v3, s3
	s_waitcnt vmcnt(0)
	v_ashrrev_i32_e32 v1, 31, v0
	v_lshlrev_b64 v[0:1], 3, v[0:1]
	v_add_co_u32_e32 v0, vcc, s2, v0
	v_addc_co_u32_e32 v1, vcc, v3, v1, vcc
	v_mov_b32_e32 v3, v2
	global_store_dwordx2 v[0:1], v[2:3], off
	s_endpgm
	.section	.rodata,"a",@progbits
	.p2align	6, 0x0
	.amdhsa_kernel _Z43applyAccelerationBoundaryConditionsForNodesPKiS0_S0_PdS1_S1_iiii
		.amdhsa_group_segment_fixed_size 0
		.amdhsa_private_segment_fixed_size 0
		.amdhsa_kernarg_size 320
		.amdhsa_user_sgpr_count 6
		.amdhsa_user_sgpr_private_segment_buffer 1
		.amdhsa_user_sgpr_dispatch_ptr 0
		.amdhsa_user_sgpr_queue_ptr 0
		.amdhsa_user_sgpr_kernarg_segment_ptr 1
		.amdhsa_user_sgpr_dispatch_id 0
		.amdhsa_user_sgpr_flat_scratch_init 0
		.amdhsa_user_sgpr_private_segment_size 0
		.amdhsa_uses_dynamic_stack 0
		.amdhsa_system_sgpr_private_segment_wavefront_offset 0
		.amdhsa_system_sgpr_workgroup_id_x 1
		.amdhsa_system_sgpr_workgroup_id_y 0
		.amdhsa_system_sgpr_workgroup_id_z 0
		.amdhsa_system_sgpr_workgroup_info 0
		.amdhsa_system_vgpr_workitem_id 0
		.amdhsa_next_free_vgpr 5
		.amdhsa_next_free_sgpr 10
		.amdhsa_reserve_vcc 1
		.amdhsa_reserve_flat_scratch 0
		.amdhsa_float_round_mode_32 0
		.amdhsa_float_round_mode_16_64 0
		.amdhsa_float_denorm_mode_32 3
		.amdhsa_float_denorm_mode_16_64 3
		.amdhsa_dx10_clamp 1
		.amdhsa_ieee_mode 1
		.amdhsa_fp16_overflow 0
		.amdhsa_exception_fp_ieee_invalid_op 0
		.amdhsa_exception_fp_denorm_src 0
		.amdhsa_exception_fp_ieee_div_zero 0
		.amdhsa_exception_fp_ieee_overflow 0
		.amdhsa_exception_fp_ieee_underflow 0
		.amdhsa_exception_fp_ieee_inexact 0
		.amdhsa_exception_int_div_zero 0
	.end_amdhsa_kernel
	.text
.Lfunc_end7:
	.size	_Z43applyAccelerationBoundaryConditionsForNodesPKiS0_S0_PdS1_S1_iiii, .Lfunc_end7-_Z43applyAccelerationBoundaryConditionsForNodesPKiS0_S0_PdS1_S1_iiii
                                        ; -- End function
	.set _Z43applyAccelerationBoundaryConditionsForNodesPKiS0_S0_PdS1_S1_iiii.num_vgpr, 5
	.set _Z43applyAccelerationBoundaryConditionsForNodesPKiS0_S0_PdS1_S1_iiii.num_agpr, 0
	.set _Z43applyAccelerationBoundaryConditionsForNodesPKiS0_S0_PdS1_S1_iiii.numbered_sgpr, 10
	.set _Z43applyAccelerationBoundaryConditionsForNodesPKiS0_S0_PdS1_S1_iiii.num_named_barrier, 0
	.set _Z43applyAccelerationBoundaryConditionsForNodesPKiS0_S0_PdS1_S1_iiii.private_seg_size, 0
	.set _Z43applyAccelerationBoundaryConditionsForNodesPKiS0_S0_PdS1_S1_iiii.uses_vcc, 1
	.set _Z43applyAccelerationBoundaryConditionsForNodesPKiS0_S0_PdS1_S1_iiii.uses_flat_scratch, 0
	.set _Z43applyAccelerationBoundaryConditionsForNodesPKiS0_S0_PdS1_S1_iiii.has_dyn_sized_stack, 0
	.set _Z43applyAccelerationBoundaryConditionsForNodesPKiS0_S0_PdS1_S1_iiii.has_recursion, 0
	.set _Z43applyAccelerationBoundaryConditionsForNodesPKiS0_S0_PdS1_S1_iiii.has_indirect_call, 0
	.section	.AMDGPU.csdata,"",@progbits
; Kernel info:
; codeLenInByte = 384
; TotalNumSgprs: 14
; NumVgprs: 5
; ScratchSize: 0
; MemoryBound: 0
; FloatMode: 240
; IeeeMode: 1
; LDSByteSize: 0 bytes/workgroup (compile time only)
; SGPRBlocks: 1
; VGPRBlocks: 1
; NumSGPRsForWavesPerEU: 14
; NumVGPRsForWavesPerEU: 5
; Occupancy: 10
; WaveLimiterHint : 1
; COMPUTE_PGM_RSRC2:SCRATCH_EN: 0
; COMPUTE_PGM_RSRC2:USER_SGPR: 6
; COMPUTE_PGM_RSRC2:TRAP_HANDLER: 0
; COMPUTE_PGM_RSRC2:TGID_X_EN: 1
; COMPUTE_PGM_RSRC2:TGID_Y_EN: 0
; COMPUTE_PGM_RSRC2:TGID_Z_EN: 0
; COMPUTE_PGM_RSRC2:TIDIG_COMP_CNT: 0
	.text
	.protected	_Z20calcVelocityForNodesPdS_S_PKdS1_S1_ddi ; -- Begin function _Z20calcVelocityForNodesPdS_S_PKdS1_S1_ddi
	.globl	_Z20calcVelocityForNodesPdS_S_PKdS1_S1_ddi
	.p2align	8
	.type	_Z20calcVelocityForNodesPdS_S_PKdS1_S1_ddi,@function
_Z20calcVelocityForNodesPdS_S_PKdS1_S1_ddi: ; @_Z20calcVelocityForNodesPdS_S_PKdS1_S1_ddi
; %bb.0:
	s_load_dword s0, s[4:5], 0x54
	s_load_dword s1, s[4:5], 0x40
	s_waitcnt lgkmcnt(0)
	s_and_b32 s0, s0, 0xffff
	s_mul_i32 s6, s6, s0
	v_add_u32_e32 v0, s6, v0
	v_cmp_gt_i32_e32 vcc, s1, v0
	s_and_saveexec_b64 s[0:1], vcc
	s_cbranch_execz .LBB8_2
; %bb.1:
	s_load_dwordx8 s[16:23], s[4:5], 0x0
	s_load_dwordx8 s[8:15], s[4:5], 0x20
	v_ashrrev_i32_e32 v1, 31, v0
	v_lshlrev_b64 v[0:1], 3, v[0:1]
	s_waitcnt lgkmcnt(0)
	v_mov_b32_e32 v3, s17
	v_add_co_u32_e32 v2, vcc, s16, v0
	v_addc_co_u32_e32 v3, vcc, v3, v1, vcc
	v_mov_b32_e32 v7, s23
	v_add_co_u32_e32 v6, vcc, s22, v0
	v_addc_co_u32_e32 v7, vcc, v7, v1, vcc
	;; [unrolled: 3-line block ×5, first 2 shown]
	global_load_dwordx2 v[4:5], v[2:3], off
	v_mov_b32_e32 v16, s11
	global_load_dwordx2 v[6:7], v[6:7], off
	v_add_co_u32_e32 v0, vcc, s10, v0
	global_load_dwordx2 v[10:11], v[8:9], off
	v_addc_co_u32_e32 v1, vcc, v16, v1, vcc
	global_load_dwordx2 v[12:13], v[12:13], off
	s_nop 0
	global_load_dwordx2 v[16:17], v[14:15], off
	global_load_dwordx2 v[18:19], v[0:1], off
	s_waitcnt vmcnt(4)
	v_fma_f64 v[0:1], s[12:13], v[6:7], v[4:5]
	s_waitcnt vmcnt(2)
	v_fma_f64 v[4:5], s[12:13], v[12:13], v[10:11]
	;; [unrolled: 2-line block ×3, first 2 shown]
	v_cmp_nlt_f64_e64 vcc, |v[0:1]|, s[14:15]
	v_cmp_nlt_f64_e64 s[0:1], |v[4:5]|, s[14:15]
	v_cmp_nlt_f64_e64 s[2:3], |v[6:7]|, s[14:15]
	v_cndmask_b32_e32 v1, 0, v1, vcc
	v_cndmask_b32_e32 v0, 0, v0, vcc
	v_cndmask_b32_e64 v5, 0, v5, s[0:1]
	v_cndmask_b32_e64 v7, 0, v7, s[2:3]
	;; [unrolled: 1-line block ×4, first 2 shown]
	global_store_dwordx2 v[2:3], v[0:1], off
	global_store_dwordx2 v[8:9], v[4:5], off
	;; [unrolled: 1-line block ×3, first 2 shown]
.LBB8_2:
	s_endpgm
	.section	.rodata,"a",@progbits
	.p2align	6, 0x0
	.amdhsa_kernel _Z20calcVelocityForNodesPdS_S_PKdS1_S1_ddi
		.amdhsa_group_segment_fixed_size 0
		.amdhsa_private_segment_fixed_size 0
		.amdhsa_kernarg_size 328
		.amdhsa_user_sgpr_count 6
		.amdhsa_user_sgpr_private_segment_buffer 1
		.amdhsa_user_sgpr_dispatch_ptr 0
		.amdhsa_user_sgpr_queue_ptr 0
		.amdhsa_user_sgpr_kernarg_segment_ptr 1
		.amdhsa_user_sgpr_dispatch_id 0
		.amdhsa_user_sgpr_flat_scratch_init 0
		.amdhsa_user_sgpr_private_segment_size 0
		.amdhsa_uses_dynamic_stack 0
		.amdhsa_system_sgpr_private_segment_wavefront_offset 0
		.amdhsa_system_sgpr_workgroup_id_x 1
		.amdhsa_system_sgpr_workgroup_id_y 0
		.amdhsa_system_sgpr_workgroup_id_z 0
		.amdhsa_system_sgpr_workgroup_info 0
		.amdhsa_system_vgpr_workitem_id 0
		.amdhsa_next_free_vgpr 20
		.amdhsa_next_free_sgpr 24
		.amdhsa_reserve_vcc 1
		.amdhsa_reserve_flat_scratch 0
		.amdhsa_float_round_mode_32 0
		.amdhsa_float_round_mode_16_64 0
		.amdhsa_float_denorm_mode_32 3
		.amdhsa_float_denorm_mode_16_64 3
		.amdhsa_dx10_clamp 1
		.amdhsa_ieee_mode 1
		.amdhsa_fp16_overflow 0
		.amdhsa_exception_fp_ieee_invalid_op 0
		.amdhsa_exception_fp_denorm_src 0
		.amdhsa_exception_fp_ieee_div_zero 0
		.amdhsa_exception_fp_ieee_overflow 0
		.amdhsa_exception_fp_ieee_underflow 0
		.amdhsa_exception_fp_ieee_inexact 0
		.amdhsa_exception_int_div_zero 0
	.end_amdhsa_kernel
	.text
.Lfunc_end8:
	.size	_Z20calcVelocityForNodesPdS_S_PKdS1_S1_ddi, .Lfunc_end8-_Z20calcVelocityForNodesPdS_S_PKdS1_S1_ddi
                                        ; -- End function
	.set _Z20calcVelocityForNodesPdS_S_PKdS1_S1_ddi.num_vgpr, 20
	.set _Z20calcVelocityForNodesPdS_S_PKdS1_S1_ddi.num_agpr, 0
	.set _Z20calcVelocityForNodesPdS_S_PKdS1_S1_ddi.numbered_sgpr, 24
	.set _Z20calcVelocityForNodesPdS_S_PKdS1_S1_ddi.num_named_barrier, 0
	.set _Z20calcVelocityForNodesPdS_S_PKdS1_S1_ddi.private_seg_size, 0
	.set _Z20calcVelocityForNodesPdS_S_PKdS1_S1_ddi.uses_vcc, 1
	.set _Z20calcVelocityForNodesPdS_S_PKdS1_S1_ddi.uses_flat_scratch, 0
	.set _Z20calcVelocityForNodesPdS_S_PKdS1_S1_ddi.has_dyn_sized_stack, 0
	.set _Z20calcVelocityForNodesPdS_S_PKdS1_S1_ddi.has_recursion, 0
	.set _Z20calcVelocityForNodesPdS_S_PKdS1_S1_ddi.has_indirect_call, 0
	.section	.AMDGPU.csdata,"",@progbits
; Kernel info:
; codeLenInByte = 332
; TotalNumSgprs: 28
; NumVgprs: 20
; ScratchSize: 0
; MemoryBound: 0
; FloatMode: 240
; IeeeMode: 1
; LDSByteSize: 0 bytes/workgroup (compile time only)
; SGPRBlocks: 3
; VGPRBlocks: 4
; NumSGPRsForWavesPerEU: 28
; NumVGPRsForWavesPerEU: 20
; Occupancy: 10
; WaveLimiterHint : 0
; COMPUTE_PGM_RSRC2:SCRATCH_EN: 0
; COMPUTE_PGM_RSRC2:USER_SGPR: 6
; COMPUTE_PGM_RSRC2:TRAP_HANDLER: 0
; COMPUTE_PGM_RSRC2:TGID_X_EN: 1
; COMPUTE_PGM_RSRC2:TGID_Y_EN: 0
; COMPUTE_PGM_RSRC2:TGID_Z_EN: 0
; COMPUTE_PGM_RSRC2:TIDIG_COMP_CNT: 0
	.text
	.protected	_Z20calcPositionForNodesPdS_S_PKdS1_S1_di ; -- Begin function _Z20calcPositionForNodesPdS_S_PKdS1_S1_di
	.globl	_Z20calcPositionForNodesPdS_S_PKdS1_S1_di
	.p2align	8
	.type	_Z20calcPositionForNodesPdS_S_PKdS1_S1_di,@function
_Z20calcPositionForNodesPdS_S_PKdS1_S1_di: ; @_Z20calcPositionForNodesPdS_S_PKdS1_S1_di
; %bb.0:
	s_load_dword s0, s[4:5], 0x4c
	s_load_dword s1, s[4:5], 0x38
	s_waitcnt lgkmcnt(0)
	s_and_b32 s0, s0, 0xffff
	s_mul_i32 s6, s6, s0
	v_add_u32_e32 v0, s6, v0
	v_cmp_gt_i32_e32 vcc, s1, v0
	s_and_saveexec_b64 s[0:1], vcc
	s_cbranch_execz .LBB9_2
; %bb.1:
	s_load_dwordx8 s[8:15], s[4:5], 0x0
	s_load_dwordx4 s[0:3], s[4:5], 0x20
	s_load_dwordx2 s[6:7], s[4:5], 0x30
	v_ashrrev_i32_e32 v1, 31, v0
	v_lshlrev_b64 v[0:1], 3, v[0:1]
	s_waitcnt lgkmcnt(0)
	v_mov_b32_e32 v3, s15
	v_add_co_u32_e32 v2, vcc, s14, v0
	v_addc_co_u32_e32 v3, vcc, v3, v1, vcc
	v_mov_b32_e32 v5, s9
	v_add_co_u32_e32 v4, vcc, s8, v0
	v_addc_co_u32_e32 v5, vcc, v5, v1, vcc
	;; [unrolled: 3-line block ×5, first 2 shown]
	global_load_dwordx2 v[2:3], v[2:3], off
	v_mov_b32_e32 v16, s13
	global_load_dwordx2 v[6:7], v[4:5], off
	v_add_co_u32_e32 v0, vcc, s12, v0
	global_load_dwordx2 v[8:9], v[8:9], off
	v_addc_co_u32_e32 v1, vcc, v16, v1, vcc
	global_load_dwordx2 v[12:13], v[10:11], off
	global_load_dwordx2 v[16:17], v[0:1], off
	s_waitcnt vmcnt(3)
	v_fma_f64 v[2:3], s[6:7], v[2:3], v[6:7]
	global_load_dwordx2 v[14:15], v[14:15], off
	s_waitcnt vmcnt(2)
	v_fma_f64 v[6:7], s[6:7], v[8:9], v[12:13]
	s_waitcnt vmcnt(0)
	v_fma_f64 v[8:9], s[6:7], v[14:15], v[16:17]
	global_store_dwordx2 v[4:5], v[2:3], off
	global_store_dwordx2 v[10:11], v[6:7], off
	;; [unrolled: 1-line block ×3, first 2 shown]
.LBB9_2:
	s_endpgm
	.section	.rodata,"a",@progbits
	.p2align	6, 0x0
	.amdhsa_kernel _Z20calcPositionForNodesPdS_S_PKdS1_S1_di
		.amdhsa_group_segment_fixed_size 0
		.amdhsa_private_segment_fixed_size 0
		.amdhsa_kernarg_size 320
		.amdhsa_user_sgpr_count 6
		.amdhsa_user_sgpr_private_segment_buffer 1
		.amdhsa_user_sgpr_dispatch_ptr 0
		.amdhsa_user_sgpr_queue_ptr 0
		.amdhsa_user_sgpr_kernarg_segment_ptr 1
		.amdhsa_user_sgpr_dispatch_id 0
		.amdhsa_user_sgpr_flat_scratch_init 0
		.amdhsa_user_sgpr_private_segment_size 0
		.amdhsa_uses_dynamic_stack 0
		.amdhsa_system_sgpr_private_segment_wavefront_offset 0
		.amdhsa_system_sgpr_workgroup_id_x 1
		.amdhsa_system_sgpr_workgroup_id_y 0
		.amdhsa_system_sgpr_workgroup_id_z 0
		.amdhsa_system_sgpr_workgroup_info 0
		.amdhsa_system_vgpr_workitem_id 0
		.amdhsa_next_free_vgpr 18
		.amdhsa_next_free_sgpr 16
		.amdhsa_reserve_vcc 1
		.amdhsa_reserve_flat_scratch 0
		.amdhsa_float_round_mode_32 0
		.amdhsa_float_round_mode_16_64 0
		.amdhsa_float_denorm_mode_32 3
		.amdhsa_float_denorm_mode_16_64 3
		.amdhsa_dx10_clamp 1
		.amdhsa_ieee_mode 1
		.amdhsa_fp16_overflow 0
		.amdhsa_exception_fp_ieee_invalid_op 0
		.amdhsa_exception_fp_denorm_src 0
		.amdhsa_exception_fp_ieee_div_zero 0
		.amdhsa_exception_fp_ieee_overflow 0
		.amdhsa_exception_fp_ieee_underflow 0
		.amdhsa_exception_fp_ieee_inexact 0
		.amdhsa_exception_int_div_zero 0
	.end_amdhsa_kernel
	.text
.Lfunc_end9:
	.size	_Z20calcPositionForNodesPdS_S_PKdS1_S1_di, .Lfunc_end9-_Z20calcPositionForNodesPdS_S_PKdS1_S1_di
                                        ; -- End function
	.set _Z20calcPositionForNodesPdS_S_PKdS1_S1_di.num_vgpr, 18
	.set _Z20calcPositionForNodesPdS_S_PKdS1_S1_di.num_agpr, 0
	.set _Z20calcPositionForNodesPdS_S_PKdS1_S1_di.numbered_sgpr, 16
	.set _Z20calcPositionForNodesPdS_S_PKdS1_S1_di.num_named_barrier, 0
	.set _Z20calcPositionForNodesPdS_S_PKdS1_S1_di.private_seg_size, 0
	.set _Z20calcPositionForNodesPdS_S_PKdS1_S1_di.uses_vcc, 1
	.set _Z20calcPositionForNodesPdS_S_PKdS1_S1_di.uses_flat_scratch, 0
	.set _Z20calcPositionForNodesPdS_S_PKdS1_S1_di.has_dyn_sized_stack, 0
	.set _Z20calcPositionForNodesPdS_S_PKdS1_S1_di.has_recursion, 0
	.set _Z20calcPositionForNodesPdS_S_PKdS1_S1_di.has_indirect_call, 0
	.section	.AMDGPU.csdata,"",@progbits
; Kernel info:
; codeLenInByte = 272
; TotalNumSgprs: 20
; NumVgprs: 18
; ScratchSize: 0
; MemoryBound: 0
; FloatMode: 240
; IeeeMode: 1
; LDSByteSize: 0 bytes/workgroup (compile time only)
; SGPRBlocks: 2
; VGPRBlocks: 4
; NumSGPRsForWavesPerEU: 20
; NumVGPRsForWavesPerEU: 18
; Occupancy: 10
; WaveLimiterHint : 0
; COMPUTE_PGM_RSRC2:SCRATCH_EN: 0
; COMPUTE_PGM_RSRC2:USER_SGPR: 6
; COMPUTE_PGM_RSRC2:TRAP_HANDLER: 0
; COMPUTE_PGM_RSRC2:TGID_X_EN: 1
; COMPUTE_PGM_RSRC2:TGID_Y_EN: 0
; COMPUTE_PGM_RSRC2:TGID_Z_EN: 0
; COMPUTE_PGM_RSRC2:TIDIG_COMP_CNT: 0
	.text
	.protected	_Z22calcKinematicsForElemsPKdS0_S0_S0_S0_S0_PKiS0_S0_PdS3_S3_S3_S3_S3_di ; -- Begin function _Z22calcKinematicsForElemsPKdS0_S0_S0_S0_S0_PKiS0_S0_PdS3_S3_S3_S3_S3_di
	.globl	_Z22calcKinematicsForElemsPKdS0_S0_S0_S0_S0_PKiS0_S0_PdS3_S3_S3_S3_S3_di
	.p2align	8
	.type	_Z22calcKinematicsForElemsPKdS0_S0_S0_S0_S0_PKiS0_S0_PdS3_S3_S3_S3_S3_di,@function
_Z22calcKinematicsForElemsPKdS0_S0_S0_S0_S0_PKiS0_S0_PdS3_S3_S3_S3_S3_di: ; @_Z22calcKinematicsForElemsPKdS0_S0_S0_S0_S0_PKiS0_S0_PdS3_S3_S3_S3_S3_di
; %bb.0:
	s_mov_b64 s[26:27], s[2:3]
	s_mov_b64 s[24:25], s[0:1]
	s_load_dword s0, s[4:5], 0x94
	s_load_dword s1, s[4:5], 0x80
	s_add_u32 s24, s24, s7
	s_addc_u32 s25, s25, 0
	s_waitcnt lgkmcnt(0)
	s_and_b32 s0, s0, 0xffff
	s_mul_i32 s6, s6, s0
	v_add_u32_e32 v0, s6, v0
	v_cmp_gt_i32_e32 vcc, s1, v0
	s_and_saveexec_b64 s[0:1], vcc
	s_cbranch_execz .LBB10_2
; %bb.1:
	buffer_store_dword v0, off, s[24:27], 0 offset:24 ; 4-byte Folded Spill
	s_nop 0
	buffer_store_dword v1, off, s[24:27], 0 offset:28 ; 4-byte Folded Spill
	s_load_dwordx8 s[16:23], s[4:5], 0x20
	s_load_dwordx8 s[8:15], s[4:5], 0x0
	s_mov_b32 s0, 0
	s_brev_b32 s1, 8
	s_mov_b32 s2, 0x55555555
	s_waitcnt lgkmcnt(0)
	v_mov_b32_e32 v2, s21
	v_mov_b32_e32 v12, s15
	;; [unrolled: 1-line block ×15, first 2 shown]
	s_mov_b32 s3, 0x3fb55555
	v_lshlrev_b32_e32 v0, 3, v0
	v_ashrrev_i32_e32 v1, 31, v0
	v_lshlrev_b64 v[0:1], 2, v[0:1]
	v_add_co_u32_e32 v3, vcc, s20, v0
	v_addc_co_u32_e32 v4, vcc, v2, v1, vcc
	global_load_dword v0, v[3:4], off
	global_load_dwordx2 v[14:15], v[3:4], off
	global_load_dwordx2 v[16:17], v[3:4], off offset:4
	global_load_dwordx2 v[22:23], v[3:4], off offset:8
	;; [unrolled: 1-line block ×3, first 2 shown]
	v_mov_b32_e32 v19, v4
	v_mov_b32_e32 v18, v3
	global_load_dwordx2 v[31:32], v[18:19], off offset:24
	v_mov_b32_e32 v51, v19
	v_mov_b32_e32 v50, v18
	buffer_store_dword v50, off, s[24:27], 0 offset:112 ; 4-byte Folded Spill
	s_nop 0
	buffer_store_dword v51, off, s[24:27], 0 offset:116 ; 4-byte Folded Spill
	global_load_dwordx2 v[36:37], v[18:19], off offset:16
	v_mov_b32_e32 v4, s15
	v_mov_b32_e32 v2, s17
	;; [unrolled: 1-line block ×3, first 2 shown]
	s_waitcnt vmcnt(8)
	v_ashrrev_i32_e32 v1, 31, v0
	s_waitcnt vmcnt(7)
	v_mov_b32_e32 v19, v15
	v_mov_b32_e32 v18, v14
	buffer_store_dword v18, off, s[24:27], 0 offset:168 ; 4-byte Folded Spill
	s_nop 0
	buffer_store_dword v19, off, s[24:27], 0 offset:172 ; 4-byte Folded Spill
	s_waitcnt vmcnt(8)
	v_mov_b32_e32 v18, v17
	v_mov_b32_e32 v17, v16
	buffer_store_dword v17, off, s[24:27], 0 offset:136 ; 4-byte Folded Spill
	s_nop 0
	buffer_store_dword v18, off, s[24:27], 0 offset:140 ; 4-byte Folded Spill
	s_waitcnt vmcnt(9)
	buffer_store_dword v22, off, s[24:27], 0 offset:104 ; 4-byte Folded Spill
	s_nop 0
	buffer_store_dword v23, off, s[24:27], 0 offset:108 ; 4-byte Folded Spill
	s_waitcnt vmcnt(10)
	v_mov_b32_e32 v22, v21
	v_mov_b32_e32 v21, v20
	buffer_store_dword v21, off, s[24:27], 0 offset:32 ; 4-byte Folded Spill
	s_nop 0
	buffer_store_dword v22, off, s[24:27], 0 offset:36 ; 4-byte Folded Spill
	s_waitcnt vmcnt(11)
	buffer_store_dword v31, off, s[24:27], 0 offset:48 ; 4-byte Folded Spill
	s_nop 0
	buffer_store_dword v32, off, s[24:27], 0 offset:52 ; 4-byte Folded Spill
	s_waitcnt vmcnt(10)
	buffer_store_dword v36, off, s[24:27], 0 offset:120 ; 4-byte Folded Spill
	s_nop 0
	buffer_store_dword v37, off, s[24:27], 0 offset:124 ; 4-byte Folded Spill
	v_lshlrev_b64 v[0:1], 3, v[0:1]
	v_ashrrev_i32_e32 v15, 31, v19
	v_mov_b32_e32 v14, v19
	v_lshlrev_b64 v[14:15], 3, v[14:15]
	v_ashrrev_i32_e32 v17, 31, v18
	v_mov_b32_e32 v16, v18
	v_ashrrev_i32_e32 v19, 31, v23
	v_mov_b32_e32 v18, v23
	;; [unrolled: 2-line block ×3, first 2 shown]
	v_add_co_u32_e32 v22, vcc, s14, v0
	v_addc_co_u32_e32 v23, vcc, v12, v1, vcc
	v_add_co_u32_e32 v12, vcc, s16, v0
	v_addc_co_u32_e32 v13, vcc, v13, v1, vcc
	;; [unrolled: 2-line block ×5, first 2 shown]
	v_lshlrev_b64 v[16:17], 3, v[16:17]
	v_add_co_u32_e32 v8, vcc, s18, v14
	v_addc_co_u32_e32 v9, vcc, v9, v15, vcc
	v_add_co_u32_e32 v10, vcc, s14, v16
	v_addc_co_u32_e32 v11, vcc, v7, v17, vcc
	;; [unrolled: 2-line block ×3, first 2 shown]
	v_lshlrev_b64 v[18:19], 3, v[18:19]
	v_add_co_u32_e32 v6, vcc, s18, v16
	v_addc_co_u32_e32 v7, vcc, v5, v17, vcc
	v_add_co_u32_e32 v16, vcc, s14, v18
	v_addc_co_u32_e32 v17, vcc, v4, v19, vcc
	v_add_co_u32_e32 v4, vcc, s16, v18
	v_addc_co_u32_e32 v5, vcc, v2, v19, vcc
	v_lshlrev_b64 v[20:21], 3, v[20:21]
	v_add_co_u32_e32 v2, vcc, s18, v18
	v_addc_co_u32_e32 v3, vcc, v3, v19, vcc
	v_mov_b32_e32 v19, s15
	v_add_co_u32_e32 v18, vcc, s14, v20
	v_addc_co_u32_e32 v19, vcc, v19, v21, vcc
	v_add_co_u32_e32 v28, vcc, s16, v20
	v_addc_co_u32_e32 v29, vcc, v29, v21, vcc
	;; [unrolled: 2-line block ×3, first 2 shown]
	v_ashrrev_i32_e32 v31, 31, v32
	v_mov_b32_e32 v30, v32
	v_lshlrev_b64 v[30:31], 3, v[30:31]
	v_ashrrev_i32_e32 v40, 31, v37
	v_add_co_u32_e32 v32, vcc, s14, v30
	v_addc_co_u32_e32 v33, vcc, v33, v31, vcc
	v_add_co_u32_e32 v34, vcc, s16, v30
	v_addc_co_u32_e32 v35, vcc, v35, v31, vcc
	v_mov_b32_e32 v39, v37
	v_add_co_u32_e32 v30, vcc, s18, v30
	v_lshlrev_b64 v[39:40], 3, v[39:40]
	v_addc_co_u32_e32 v31, vcc, v38, v31, vcc
	v_mov_b32_e32 v38, s15
	v_add_co_u32_e32 v42, vcc, s14, v39
	v_addc_co_u32_e32 v43, vcc, v38, v40, vcc
	v_mov_b32_e32 v38, s17
	v_add_co_u32_e32 v44, vcc, s16, v39
	;; [unrolled: 3-line block ×3, first 2 shown]
	v_addc_co_u32_e32 v47, vcc, v38, v40, vcc
	global_load_dwordx2 v[36:37], v[16:17], off
	s_nop 0
	global_load_dwordx2 v[16:17], v[18:19], off
	global_load_dwordx2 v[52:53], v[0:1], off
	s_nop 0
	global_load_dwordx2 v[0:1], v[6:7], off
	s_nop 0
	;; [unrolled: 2-line block ×3, first 2 shown]
	global_load_dwordx2 v[48:49], v[20:21], off
	global_load_dwordx2 v[38:39], v[10:11], off
	s_nop 0
	global_load_dwordx2 v[22:23], v[22:23], off
	s_nop 0
	global_load_dwordx2 v[10:11], v[34:35], off
	global_load_dwordx2 v[58:59], v[26:27], off
	;; [unrolled: 1-line block ×3, first 2 shown]
	s_nop 0
	global_load_dwordx2 v[4:5], v[14:15], off
	s_nop 0
	global_load_dwordx2 v[14:15], v[12:13], off
	global_load_dwordx2 v[34:35], v[28:29], off
	;; [unrolled: 1-line block ×5, first 2 shown]
	s_nop 0
	global_load_dwordx2 v[28:29], v[42:43], off
	global_load_dwordx2 v[12:13], v[30:31], off
	;; [unrolled: 1-line block ×3, first 2 shown]
	s_waitcnt vmcnt(0)
	buffer_store_dword v6, off, s[24:27], 0 offset:16 ; 4-byte Folded Spill
	s_nop 0
	buffer_store_dword v7, off, s[24:27], 0 offset:20 ; 4-byte Folded Spill
	v_mov_b32_e32 v7, v1
	v_mov_b32_e32 v24, v36
	;; [unrolled: 1-line block ×4, first 2 shown]
	v_add_f64 v[30:31], v[6:7], -v[52:53]
	v_add_f64 v[26:27], v[16:17], -v[24:25]
	v_mov_b32_e32 v9, v3
	v_mov_b32_e32 v37, v17
	;; [unrolled: 1-line block ×4, first 2 shown]
	v_add_f64 v[16:17], v[48:49], -v[8:9]
	v_add_f64 v[2:3], v[10:11], -v[4:5]
	v_mov_b32_e32 v43, v31
	v_mul_f64 v[0:1], v[26:27], v[30:31]
	v_mov_b32_e32 v42, v30
	v_mov_b32_e32 v31, v27
	;; [unrolled: 1-line block ×3, first 2 shown]
	v_add_f64 v[26:27], v[20:21], -v[58:59]
	buffer_store_dword v16, off, s[24:27], 0 offset:192 ; 4-byte Folded Spill
	s_nop 0
	buffer_store_dword v17, off, s[24:27], 0 offset:196 ; 4-byte Folded Spill
	buffer_store_dword v42, off, s[24:27], 0 offset:384 ; 4-byte Folded Spill
	s_nop 0
	buffer_store_dword v43, off, s[24:27], 0 offset:388 ; 4-byte Folded Spill
	;; [unrolled: 3-line block ×5, first 2 shown]
	v_add_f64 v[46:47], v[38:39], -v[22:23]
	global_load_dwordx2 v[40:41], v[44:45], off
	v_mov_b32_e32 v45, v15
	v_mov_b32_e32 v33, v21
	;; [unrolled: 1-line block ×4, first 2 shown]
	v_fma_f64 v[0:1], v[46:47], v[16:17], -v[0:1]
	v_add_f64 v[2:3], v[26:27], v[2:3]
	v_mov_b32_e32 v27, v5
	v_mov_b32_e32 v26, v4
	buffer_store_dword v26, off, s[24:27], 0 offset:8 ; 4-byte Folded Spill
	s_nop 0
	buffer_store_dword v27, off, s[24:27], 0 offset:12 ; 4-byte Folded Spill
	buffer_store_dword v32, off, s[24:27], 0 offset:40 ; 4-byte Folded Spill
	s_nop 0
	buffer_store_dword v33, off, s[24:27], 0 offset:44 ; 4-byte Folded Spill
	v_mul_f64 v[0:1], v[2:3], v[0:1]
	v_add_f64 v[2:3], v[4:5], -v[14:15]
	v_add_f64 v[14:15], v[34:35], -v[20:21]
	;; [unrolled: 1-line block ×3, first 2 shown]
	v_mov_b32_e32 v21, v3
	v_mov_b32_e32 v20, v2
	buffer_store_dword v20, off, s[24:27], 0 offset:400 ; 4-byte Folded Spill
	s_nop 0
	buffer_store_dword v21, off, s[24:27], 0 offset:404 ; 4-byte Folded Spill
	buffer_store_dword v14, off, s[24:27], 0 offset:304 ; 4-byte Folded Spill
	s_nop 0
	buffer_store_dword v15, off, s[24:27], 0 offset:308 ; 4-byte Folded Spill
	v_mul_f64 v[2:3], v[20:21], v[16:17]
	v_add_f64 v[16:17], v[24:25], -v[54:55]
	buffer_store_dword v16, off, s[24:27], 0 offset:368 ; 4-byte Folded Spill
	s_nop 0
	buffer_store_dword v17, off, s[24:27], 0 offset:372 ; 4-byte Folded Spill
	v_fma_f64 v[2:3], v[14:15], v[42:43], -v[2:3]
	v_mov_b32_e32 v43, v25
	v_mov_b32_e32 v42, v24
	buffer_store_dword v42, off, s[24:27], 0 offset:80 ; 4-byte Folded Spill
	s_nop 0
	buffer_store_dword v43, off, s[24:27], 0 offset:84 ; 4-byte Folded Spill
	buffer_store_dword v4, off, s[24:27], 0 offset:272 ; 4-byte Folded Spill
	s_nop 0
	buffer_store_dword v5, off, s[24:27], 0 offset:276 ; 4-byte Folded Spill
	v_mov_b32_e32 v24, v48
	v_mov_b32_e32 v25, v49
	v_add_f64 v[4:5], v[16:17], v[4:5]
	v_mov_b32_e32 v17, v9
	v_mov_b32_e32 v16, v8
	v_fma_f64 v[0:1], v[4:5], v[2:3], v[0:1]
	v_mul_f64 v[2:3], v[46:47], v[14:15]
	v_add_f64 v[14:15], v[8:9], -v[60:61]
	v_add_f64 v[4:5], v[12:13], -v[6:7]
	buffer_store_dword v14, off, s[24:27], 0 offset:392 ; 4-byte Folded Spill
	s_nop 0
	buffer_store_dword v15, off, s[24:27], 0 offset:396 ; 4-byte Folded Spill
	buffer_store_dword v16, off, s[24:27], 0 offset:56 ; 4-byte Folded Spill
	s_nop 0
	buffer_store_dword v17, off, s[24:27], 0 offset:60 ; 4-byte Folded Spill
	;; [unrolled: 3-line block ×3, first 2 shown]
	v_fma_f64 v[2:3], v[30:31], v[20:21], -v[2:3]
	v_mov_b32_e32 v21, v7
	v_mov_b32_e32 v20, v6
	v_mov_b32_e32 v6, s19
	v_add_f64 v[4:5], v[14:15], v[4:5]
	v_fma_f64 v[0:1], v[2:3], v[4:5], v[0:1]
	buffer_store_dword v0, off, s[24:27], 0 offset:144 ; 4-byte Folded Spill
	s_nop 0
	buffer_store_dword v1, off, s[24:27], 0 offset:148 ; 4-byte Folded Spill
	global_load_dwordx2 v[1:2], v[50:51], off offset:12
	v_mov_b32_e32 v3, s15
	v_mov_b32_e32 v5, s17
	s_waitcnt vmcnt(0)
	buffer_store_dword v1, off, s[24:27], 0 offset:232 ; 4-byte Folded Spill
	s_nop 0
	buffer_store_dword v2, off, s[24:27], 0 offset:236 ; 4-byte Folded Spill
	v_ashrrev_i32_e32 v1, 31, v2
	v_mov_b32_e32 v0, v2
	v_lshlrev_b64 v[0:1], 3, v[0:1]
	v_add_co_u32_e32 v2, vcc, s14, v0
	v_addc_co_u32_e32 v3, vcc, v3, v1, vcc
	v_add_co_u32_e32 v4, vcc, s16, v0
	v_addc_co_u32_e32 v5, vcc, v5, v1, vcc
	;; [unrolled: 2-line block ×3, first 2 shown]
	global_load_dwordx2 v[4:5], v[4:5], off
	s_nop 0
	global_load_dwordx2 v[8:9], v[2:3], off
	s_nop 0
	global_load_dwordx2 v[2:3], v[0:1], off
	s_waitcnt vmcnt(2)
	v_add_f64 v[14:15], v[4:5], -v[32:33]
	buffer_store_dword v14, off, s[24:27], 0 offset:296 ; 4-byte Folded Spill
	s_nop 0
	buffer_store_dword v15, off, s[24:27], 0 offset:300 ; 4-byte Folded Spill
	buffer_store_dword v10, off, s[24:27], 0 ; 4-byte Folded Spill
	s_nop 0
	buffer_store_dword v11, off, s[24:27], 0 offset:4 ; 4-byte Folded Spill
	v_mov_b32_e32 v31, v52
	v_mov_b32_e32 v32, v53
	buffer_store_dword v31, off, s[24:27], 0 offset:72 ; 4-byte Folded Spill
	s_nop 0
	buffer_store_dword v32, off, s[24:27], 0 offset:76 ; 4-byte Folded Spill
	buffer_store_dword v36, off, s[24:27], 0 offset:128 ; 4-byte Folded Spill
	s_nop 0
	buffer_store_dword v37, off, s[24:27], 0 offset:132 ; 4-byte Folded Spill
	v_mov_b32_e32 v7, v5
	v_mov_b32_e32 v6, v4
	;; [unrolled: 1-line block ×4, first 2 shown]
	s_waitcnt vmcnt(8)
	v_mov_b32_e32 v13, v3
	v_mov_b32_e32 v12, v2
	v_add_f64 v[0:1], v[40:41], -v[10:11]
	v_add_f64 v[52:53], v[4:5], -v[31:32]
	v_add_f64 v[50:51], v[36:37], -v[8:9]
	v_add_f64 v[36:37], v[36:37], -v[54:55]
	v_add_f64 v[0:1], v[14:15], v[0:1]
	v_mov_b32_e32 v14, v22
	v_mov_b32_e32 v15, v23
	buffer_store_dword v14, off, s[24:27], 0 offset:152 ; 4-byte Folded Spill
	s_nop 0
	buffer_store_dword v15, off, s[24:27], 0 offset:156 ; 4-byte Folded Spill
	buffer_store_dword v24, off, s[24:27], 0 offset:64 ; 4-byte Folded Spill
	s_nop 0
	buffer_store_dword v25, off, s[24:27], 0 offset:68 ; 4-byte Folded Spill
	v_mov_b32_e32 v48, v52
	v_mov_b32_e32 v49, v53
	buffer_store_dword v48, off, s[24:27], 0 offset:320 ; 4-byte Folded Spill
	s_nop 0
	buffer_store_dword v49, off, s[24:27], 0 offset:324 ; 4-byte Folded Spill
	v_add_f64 v[22:23], v[18:19], -v[14:15]
	v_add_f64 v[62:63], v[24:25], -v[2:3]
	v_mul_f64 v[2:3], v[50:51], v[52:53]
	v_mov_b32_e32 v53, v19
	v_mov_b32_e32 v52, v18
	;; [unrolled: 1-line block ×4, first 2 shown]
	v_fma_f64 v[2:3], v[22:23], v[62:63], -v[2:3]
	buffer_store_dword v56, off, s[24:27], 0 offset:336 ; 4-byte Folded Spill
	s_nop 0
	buffer_store_dword v57, off, s[24:27], 0 offset:340 ; 4-byte Folded Spill
	v_mul_f64 v[22:23], v[0:1], v[2:3]
	v_add_f64 v[0:1], v[8:9], -v[42:43]
	buffer_store_dword v0, off, s[24:27], 0 offset:312 ; 4-byte Folded Spill
	s_nop 0
	buffer_store_dword v1, off, s[24:27], 0 offset:316 ; 4-byte Folded Spill
	buffer_store_dword v8, off, s[24:27], 0 offset:376 ; 4-byte Folded Spill
	s_nop 0
	buffer_store_dword v9, off, s[24:27], 0 offset:380 ; 4-byte Folded Spill
	v_add_f64 v[2:3], v[28:29], -v[18:19]
	buffer_store_dword v52, off, s[24:27], 0 offset:224 ; 4-byte Folded Spill
	s_nop 0
	buffer_store_dword v53, off, s[24:27], 0 offset:228 ; 4-byte Folded Spill
	v_add_f64 v[2:3], v[0:1], v[2:3]
	v_mov_b32_e32 v0, v44
	v_mov_b32_e32 v1, v45
	buffer_store_dword v0, off, s[24:27], 0 offset:88 ; 4-byte Folded Spill
	s_nop 0
	buffer_store_dword v1, off, s[24:27], 0 offset:92 ; 4-byte Folded Spill
	buffer_store_dword v34, off, s[24:27], 0 offset:96 ; 4-byte Folded Spill
	s_nop 0
	buffer_store_dword v35, off, s[24:27], 0 offset:100 ; 4-byte Folded Spill
	v_mov_b32_e32 v45, v5
	v_mov_b32_e32 v44, v4
	v_add_f64 v[18:19], v[10:11], -v[0:1]
	v_mov_b32_e32 v11, v7
	v_mov_b32_e32 v10, v6
	v_add_f64 v[42:43], v[34:35], -v[10:11]
	v_mul_f64 v[6:7], v[18:19], v[62:63]
	buffer_store_dword v18, off, s[24:27], 0 offset:344 ; 4-byte Folded Spill
	s_nop 0
	buffer_store_dword v19, off, s[24:27], 0 offset:348 ; 4-byte Folded Spill
	v_fma_f64 v[6:7], v[42:43], v[48:49], -v[6:7]
	v_fma_f64 v[22:23], v[2:3], v[6:7], v[22:23]
	v_add_f64 v[6:7], v[12:13], -v[16:17]
	buffer_store_dword v6, off, s[24:27], 0 offset:328 ; 4-byte Folded Spill
	s_nop 0
	buffer_store_dword v7, off, s[24:27], 0 offset:332 ; 4-byte Folded Spill
	buffer_load_dword v48, off, s[24:27], 0 offset:16 ; 4-byte Folded Reload
	buffer_load_dword v49, off, s[24:27], 0 offset:20 ; 4-byte Folded Reload
	s_nop 0
	buffer_store_dword v44, off, s[24:27], 0 offset:176 ; 4-byte Folded Spill
	s_nop 0
	buffer_store_dword v45, off, s[24:27], 0 offset:180 ; 4-byte Folded Spill
	v_mov_b32_e32 v17, v13
	v_mov_b32_e32 v16, v12
	s_waitcnt vmcnt(2)
	v_add_f64 v[2:3], v[48:49], -v[4:5]
	v_add_f64 v[4:5], v[54:55], -v[8:9]
	;; [unrolled: 1-line block ×3, first 2 shown]
	v_add_f64 v[2:3], v[6:7], v[2:3]
	v_mul_f64 v[6:7], v[56:57], v[42:43]
	v_mov_b32_e32 v57, v39
	v_mov_b32_e32 v56, v38
	v_fma_f64 v[6:7], v[50:51], v[18:19], -v[6:7]
	v_add_f64 v[18:19], v[48:49], -v[31:32]
	v_mov_b32_e32 v33, v21
	v_mov_b32_e32 v32, v20
	;; [unrolled: 1-line block ×4, first 2 shown]
	v_fma_f64 v[2:3], v[6:7], v[2:3], v[22:23]
	buffer_store_dword v2, off, s[24:27], 0 offset:160 ; 4-byte Folded Spill
	s_nop 0
	buffer_store_dword v3, off, s[24:27], 0 offset:164 ; 4-byte Folded Spill
	v_add_f64 v[2:3], v[38:39], -v[28:29]
	v_add_f64 v[6:7], v[26:27], -v[40:41]
	v_add_f64 v[38:39], v[28:29], -v[14:15]
	v_mul_f64 v[24:25], v[36:37], v[18:19]
	v_mov_b32_e32 v15, v9
	v_mov_b32_e32 v14, v8
	buffer_store_dword v56, off, s[24:27], 0 offset:352 ; 4-byte Folded Spill
	s_nop 0
	buffer_store_dword v57, off, s[24:27], 0 offset:356 ; 4-byte Folded Spill
	v_add_f64 v[4:5], v[4:5], v[2:3]
	v_add_f64 v[2:3], v[58:59], -v[10:11]
	buffer_store_dword v10, off, s[24:27], 0 offset:184 ; 4-byte Folded Spill
	s_nop 0
	buffer_store_dword v11, off, s[24:27], 0 offset:188 ; 4-byte Folded Spill
	v_fma_f64 v[24:25], v[38:39], v[14:15], -v[24:25]
	v_add_f64 v[2:3], v[2:3], v[6:7]
	v_mov_b32_e32 v6, v54
	v_mov_b32_e32 v7, v55
	;; [unrolled: 1-line block ×4, first 2 shown]
	buffer_store_dword v6, off, s[24:27], 0 offset:248 ; 4-byte Folded Spill
	s_nop 0
	buffer_store_dword v7, off, s[24:27], 0 offset:252 ; 4-byte Folded Spill
	v_mul_f64 v[8:9], v[2:3], v[24:25]
	v_add_f64 v[2:3], v[40:41], -v[0:1]
	v_mov_b32_e32 v40, v58
	v_add_f64 v[24:25], v[34:35], -v[58:59]
	v_mov_b32_e32 v41, v59
	buffer_store_dword v40, off, s[24:27], 0 offset:208 ; 4-byte Folded Spill
	s_nop 0
	buffer_store_dword v41, off, s[24:27], 0 offset:212 ; 4-byte Folded Spill
	v_mov_b32_e32 v35, v15
	v_mov_b32_e32 v34, v14
	v_mul_f64 v[58:59], v[2:3], v[14:15]
	v_fma_f64 v[58:59], v[24:25], v[18:19], -v[58:59]
	v_fma_f64 v[0:1], v[4:5], v[58:59], v[8:9]
	v_add_f64 v[4:5], v[60:61], -v[12:13]
	v_add_f64 v[58:59], v[20:21], -v[48:49]
	buffer_store_dword v16, off, s[24:27], 0 offset:200 ; 4-byte Folded Spill
	s_nop 0
	buffer_store_dword v17, off, s[24:27], 0 offset:204 ; 4-byte Folded Spill
	buffer_store_dword v60, off, s[24:27], 0 offset:216 ; 4-byte Folded Spill
	s_nop 0
	buffer_store_dword v61, off, s[24:27], 0 offset:220 ; 4-byte Folded Spill
	;; [unrolled: 3-line block ×3, first 2 shown]
	v_add_f64 v[4:5], v[4:5], v[58:59]
	v_mul_f64 v[58:59], v[38:39], v[24:25]
	v_fma_f64 v[58:59], v[36:37], v[2:3], -v[58:59]
	v_fma_f64 v[58:59], v[58:59], v[4:5], v[0:1]
	buffer_load_dword v4, off, s[24:27], 0 offset:360 ; 4-byte Folded Reload
	buffer_load_dword v5, off, s[24:27], 0 offset:364 ; 4-byte Folded Reload
	;; [unrolled: 1-line block ×4, first 2 shown]
	s_waitcnt vmcnt(0)
	v_add_f64 v[0:1], v[8:9], -v[4:5]
	v_add_f64 v[4:5], v[8:9], v[4:5]
	buffer_load_dword v8, off, s[24:27], 0 offset:368 ; 4-byte Folded Reload
	buffer_load_dword v9, off, s[24:27], 0 offset:372 ; 4-byte Folded Reload
	v_mul_f64 v[26:27], v[0:1], v[0:1]
	v_mul_f64 v[0:1], v[0:1], v[4:5]
	;; [unrolled: 1-line block ×3, first 2 shown]
	s_waitcnt vmcnt(0)
	v_add_f64 v[14:15], v[46:47], -v[8:9]
	v_add_f64 v[22:23], v[46:47], v[8:9]
	buffer_load_dword v46, off, s[24:27], 0 offset:384 ; 4-byte Folded Reload
	buffer_load_dword v47, off, s[24:27], 0 offset:388 ; 4-byte Folded Reload
	;; [unrolled: 1-line block ×4, first 2 shown]
	v_fma_f64 v[26:27], v[14:15], v[14:15], v[26:27]
	v_fma_f64 v[0:1], v[14:15], v[22:23], v[0:1]
	v_fma_f64 v[4:5], v[22:23], v[22:23], v[4:5]
	s_waitcnt vmcnt(0)
	v_add_f64 v[28:29], v[46:47], -v[8:9]
	v_add_f64 v[20:21], v[46:47], v[8:9]
	v_mov_b32_e32 v46, v54
	v_mov_b32_e32 v47, v55
	buffer_store_dword v46, off, s[24:27], 0 offset:256 ; 4-byte Folded Spill
	s_nop 0
	buffer_store_dword v47, off, s[24:27], 0 offset:260 ; 4-byte Folded Spill
	buffer_load_dword v8, off, s[24:27], 0  ; 4-byte Folded Reload
	buffer_load_dword v9, off, s[24:27], 0 offset:4 ; 4-byte Folded Reload
	v_fma_f64 v[14:15], v[28:29], v[28:29], v[26:27]
	v_fma_f64 v[0:1], v[28:29], v[20:21], v[0:1]
	;; [unrolled: 1-line block ×3, first 2 shown]
	v_mul_f64 v[0:1], v[0:1], v[0:1]
	v_fma_f64 v[0:1], v[14:15], v[4:5], -v[0:1]
	v_add_f64 v[4:5], v[52:53], -v[30:31]
	v_max_f64 v[0:1], v[0:1], 0
	v_add_f64 v[14:15], v[50:51], -v[4:5]
	v_add_f64 v[4:5], v[50:51], v[4:5]
	s_waitcnt vmcnt(0)
	v_add_f64 v[20:21], v[8:9], -v[46:47]
	v_add_f64 v[22:23], v[42:43], -v[20:21]
	v_add_f64 v[8:9], v[42:43], v[20:21]
	v_add_f64 v[20:21], v[44:45], -v[48:49]
	v_add_f64 v[26:27], v[62:63], -v[20:21]
	v_add_f64 v[12:13], v[62:63], v[20:21]
	v_mul_f64 v[20:21], v[22:23], v[22:23]
	v_mul_f64 v[22:23], v[22:23], v[8:9]
	;; [unrolled: 1-line block ×3, first 2 shown]
	v_mov_b32_e32 v63, v31
	v_mov_b32_e32 v62, v30
	v_fma_f64 v[20:21], v[14:15], v[14:15], v[20:21]
	v_fma_f64 v[14:15], v[14:15], v[4:5], v[22:23]
	buffer_load_dword v22, off, s[24:27], 0 offset:376 ; 4-byte Folded Reload
	buffer_load_dword v23, off, s[24:27], 0 offset:380 ; 4-byte Folded Reload
	v_fma_f64 v[4:5], v[4:5], v[4:5], v[8:9]
	v_fma_f64 v[8:9], v[26:27], v[12:13], v[14:15]
	;; [unrolled: 1-line block ×4, first 2 shown]
	v_mul_f64 v[8:9], v[8:9], v[8:9]
	v_fma_f64 v[4:5], v[14:15], v[4:5], -v[8:9]
	v_cmp_gt_f64_e32 vcc, v[4:5], v[0:1]
	v_cndmask_b32_e32 v1, v1, v5, vcc
	v_cndmask_b32_e32 v0, v0, v4, vcc
	s_waitcnt vmcnt(0)
	v_add_f64 v[4:5], v[22:23], -v[6:7]
	v_add_f64 v[6:7], v[10:11], -v[40:41]
	;; [unrolled: 1-line block ×4, first 2 shown]
	v_add_f64 v[2:3], v[6:7], v[2:3]
	v_add_f64 v[4:5], v[4:5], v[38:39]
	v_add_f64 v[6:7], v[16:17], -v[60:61]
	v_mul_f64 v[10:11], v[12:13], v[12:13]
	v_mul_f64 v[12:13], v[12:13], v[2:3]
	;; [unrolled: 1-line block ×3, first 2 shown]
	v_add_f64 v[14:15], v[18:19], -v[6:7]
	v_add_f64 v[6:7], v[6:7], v[18:19]
	v_fma_f64 v[10:11], v[8:9], v[8:9], v[10:11]
	v_fma_f64 v[8:9], v[8:9], v[4:5], v[12:13]
	;; [unrolled: 1-line block ×3, first 2 shown]
	v_add_f64 v[12:13], v[48:49], -v[32:33]
	v_fma_f64 v[4:5], v[14:15], v[6:7], v[8:9]
	v_fma_f64 v[8:9], v[14:15], v[14:15], v[10:11]
	;; [unrolled: 1-line block ×3, first 2 shown]
	v_add_f64 v[14:15], v[34:35], -v[12:13]
	v_add_f64 v[12:13], v[12:13], v[34:35]
	v_mul_f64 v[4:5], v[4:5], v[4:5]
	v_fma_f64 v[2:3], v[8:9], v[2:3], -v[4:5]
	buffer_load_dword v8, off, s[24:27], 0 offset:8 ; 4-byte Folded Reload
	buffer_load_dword v9, off, s[24:27], 0 offset:12 ; 4-byte Folded Reload
	v_add_f64 v[4:5], v[30:31], -v[56:57]
	v_cmp_gt_f64_e32 vcc, v[2:3], v[0:1]
	v_add_f64 v[6:7], v[36:37], -v[4:5]
	v_add_f64 v[4:5], v[4:5], v[36:37]
	v_cndmask_b32_e32 v1, v1, v3, vcc
	v_cndmask_b32_e32 v0, v0, v2, vcc
	s_waitcnt vmcnt(0)
	v_add_f64 v[8:9], v[46:47], -v[8:9]
	v_add_f64 v[10:11], v[24:25], -v[8:9]
	v_add_f64 v[8:9], v[8:9], v[24:25]
	v_mul_f64 v[16:17], v[10:11], v[10:11]
	v_mul_f64 v[10:11], v[10:11], v[8:9]
	;; [unrolled: 1-line block ×3, first 2 shown]
	v_fma_f64 v[16:17], v[6:7], v[6:7], v[16:17]
	v_fma_f64 v[6:7], v[6:7], v[4:5], v[10:11]
	;; [unrolled: 1-line block ×6, first 2 shown]
	v_mul_f64 v[6:7], v[6:7], v[6:7]
	v_fma_f64 v[4:5], v[8:9], v[4:5], -v[6:7]
	v_cmp_gt_f64_e32 vcc, v[4:5], v[0:1]
	v_cndmask_b32_e32 v1, v1, v5, vcc
	v_cndmask_b32_e32 v0, v0, v4, vcc
	buffer_load_dword v4, off, s[24:27], 0 offset:264 ; 4-byte Folded Reload
	buffer_load_dword v5, off, s[24:27], 0 offset:268 ; 4-byte Folded Reload
	buffer_load_dword v6, off, s[24:27], 0 offset:304 ; 4-byte Folded Reload
	buffer_load_dword v7, off, s[24:27], 0 offset:308 ; 4-byte Folded Reload
	buffer_load_dword v8, off, s[24:27], 0 offset:280 ; 4-byte Folded Reload
	buffer_load_dword v9, off, s[24:27], 0 offset:284 ; 4-byte Folded Reload
	buffer_load_dword v10, off, s[24:27], 0 offset:272 ; 4-byte Folded Reload
	buffer_load_dword v11, off, s[24:27], 0 offset:276 ; 4-byte Folded Reload
	buffer_load_dword v12, off, s[24:27], 0 offset:192 ; 4-byte Folded Reload
	buffer_load_dword v13, off, s[24:27], 0 offset:196 ; 4-byte Folded Reload
	buffer_load_dword v14, off, s[24:27], 0 offset:288 ; 4-byte Folded Reload
	buffer_load_dword v15, off, s[24:27], 0 offset:292 ; 4-byte Folded Reload
	s_waitcnt vmcnt(8)
	v_add_f64 v[2:3], v[4:5], -v[6:7]
	v_add_f64 v[4:5], v[6:7], v[4:5]
	s_waitcnt vmcnt(4)
	v_add_f64 v[6:7], v[10:11], -v[8:9]
	v_add_f64 v[8:9], v[8:9], v[10:11]
	;; [unrolled: 3-line block ×3, first 2 shown]
	v_mul_f64 v[14:15], v[2:3], v[2:3]
	v_mul_f64 v[2:3], v[2:3], v[4:5]
	;; [unrolled: 1-line block ×3, first 2 shown]
	v_fma_f64 v[14:15], v[6:7], v[6:7], v[14:15]
	v_fma_f64 v[2:3], v[6:7], v[8:9], v[2:3]
	;; [unrolled: 1-line block ×6, first 2 shown]
	v_mul_f64 v[2:3], v[2:3], v[2:3]
	v_fma_f64 v[2:3], v[6:7], v[4:5], -v[2:3]
	buffer_load_dword v6, off, s[24:27], 0 offset:296 ; 4-byte Folded Reload
	buffer_load_dword v7, off, s[24:27], 0 offset:300 ; 4-byte Folded Reload
	;; [unrolled: 1-line block ×12, first 2 shown]
	v_cmp_gt_f64_e32 vcc, v[2:3], v[0:1]
	v_cndmask_b32_e32 v1, v1, v3, vcc
	v_cndmask_b32_e32 v0, v0, v2, vcc
	v_mov_b32_e32 v2, 0x100
	s_waitcnt vmcnt(8)
	v_add_f64 v[4:5], v[6:7], -v[8:9]
	v_add_f64 v[6:7], v[6:7], v[8:9]
	s_waitcnt vmcnt(4)
	v_add_f64 v[8:9], v[12:13], -v[10:11]
	v_add_f64 v[10:11], v[12:13], v[10:11]
	;; [unrolled: 3-line block ×3, first 2 shown]
	v_mul_f64 v[16:17], v[4:5], v[4:5]
	v_mul_f64 v[4:5], v[4:5], v[6:7]
	;; [unrolled: 1-line block ×3, first 2 shown]
	v_fma_f64 v[16:17], v[8:9], v[8:9], v[16:17]
	v_fma_f64 v[4:5], v[8:9], v[10:11], v[4:5]
	;; [unrolled: 1-line block ×6, first 2 shown]
	v_mul_f64 v[4:5], v[4:5], v[4:5]
	v_fma_f64 v[4:5], v[8:9], v[6:7], -v[4:5]
	v_mov_b32_e32 v8, 0xffffff80
	v_cmp_gt_f64_e32 vcc, v[4:5], v[0:1]
	v_cndmask_b32_e32 v1, v1, v5, vcc
	v_cndmask_b32_e32 v0, v0, v4, vcc
	v_cmp_gt_f64_e64 s[0:1], s[0:1], v[0:1]
	v_cndmask_b32_e64 v2, 0, v2, s[0:1]
	v_ldexp_f64 v[0:1], v[0:1], v2
	v_cndmask_b32_e64 v8, 0, v8, s[0:1]
	v_rsq_f64_e32 v[2:3], v[0:1]
	v_mul_f64 v[4:5], v[0:1], v[2:3]
	v_mul_f64 v[2:3], v[2:3], 0.5
	v_fma_f64 v[6:7], -v[2:3], v[4:5], 0.5
	v_fma_f64 v[4:5], v[4:5], v[6:7], v[4:5]
	v_fma_f64 v[2:3], v[2:3], v[6:7], v[2:3]
	v_fma_f64 v[6:7], -v[4:5], v[4:5], v[0:1]
	v_fma_f64 v[4:5], v[6:7], v[2:3], v[4:5]
	v_fma_f64 v[6:7], -v[4:5], v[4:5], v[0:1]
	v_fma_f64 v[2:3], v[6:7], v[2:3], v[4:5]
	buffer_load_dword v4, off, s[24:27], 0 offset:144 ; 4-byte Folded Reload
	buffer_load_dword v5, off, s[24:27], 0 offset:148 ; 4-byte Folded Reload
	;; [unrolled: 1-line block ×4, first 2 shown]
	v_ldexp_f64 v[2:3], v[2:3], v8
	v_mov_b32_e32 v8, 0x260
	s_waitcnt vmcnt(0)
	v_add_f64 v[4:5], v[4:5], v[6:7]
	buffer_load_dword v6, off, s[24:27], 0 offset:24 ; 4-byte Folded Reload
	buffer_load_dword v7, off, s[24:27], 0 offset:28 ; 4-byte Folded Reload
	v_add_f64 v[4:5], v[58:59], v[4:5]
	v_mul_f64 v[4:5], v[4:5], s[2:3]
	s_waitcnt vmcnt(0)
	v_ashrrev_i32_e32 v7, 31, v6
	v_lshlrev_b64 v[20:21], 3, v[6:7]
	v_mov_b32_e32 v7, s23
	v_add_co_u32_e32 v6, vcc, s22, v20
	v_addc_co_u32_e32 v7, vcc, v7, v21, vcc
	global_load_dwordx2 v[6:7], v[6:7], off
	s_waitcnt vmcnt(0)
	v_div_scale_f64 v[10:11], s[2:3], v[6:7], v[6:7], v[4:5]
	v_rcp_f64_e32 v[12:13], v[10:11]
	v_fma_f64 v[14:15], -v[10:11], v[12:13], 1.0
	v_fma_f64 v[12:13], v[12:13], v[14:15], v[12:13]
	v_fma_f64 v[14:15], -v[10:11], v[12:13], 1.0
	v_fma_f64 v[12:13], v[12:13], v[14:15], v[12:13]
	v_div_scale_f64 v[14:15], vcc, v[4:5], v[6:7], v[4:5]
	v_mul_f64 v[16:17], v[14:15], v[12:13]
	v_fma_f64 v[10:11], -v[10:11], v[16:17], v[14:15]
	s_nop 1
	v_div_fmas_f64 v[10:11], v[10:11], v[12:13], v[16:17]
	v_cmp_class_f64_e32 vcc, v[0:1], v8
	v_cndmask_b32_e32 v9, v3, v1, vcc
	v_cndmask_b32_e32 v8, v2, v0, vcc
	buffer_store_dword v8, off, s[24:27], 0 offset:144 ; 4-byte Folded Spill
	s_nop 0
	buffer_store_dword v9, off, s[24:27], 0 offset:148 ; 4-byte Folded Spill
	v_div_fixup_f64 v[0:1], v[10:11], v[6:7], v[4:5]
	v_mul_f64 v[6:7], v[4:5], 4.0
	buffer_store_dword v0, off, s[24:27], 0 offset:192 ; 4-byte Folded Spill
	s_nop 0
	buffer_store_dword v1, off, s[24:27], 0 offset:196 ; 4-byte Folded Spill
	buffer_store_dword v6, off, s[24:27], 0 offset:24 ; 4-byte Folded Spill
	s_nop 0
	buffer_store_dword v7, off, s[24:27], 0 offset:28 ; 4-byte Folded Spill
	v_div_scale_f64 v[0:1], s[0:1], v[8:9], v[8:9], v[6:7]
	v_rcp_f64_e32 v[2:3], v[0:1]
	v_fma_f64 v[4:5], -v[0:1], v[2:3], 1.0
	v_fma_f64 v[2:3], v[2:3], v[4:5], v[2:3]
	v_fma_f64 v[4:5], -v[0:1], v[2:3], 1.0
	v_fma_f64 v[2:3], v[2:3], v[4:5], v[2:3]
	v_div_scale_f64 v[4:5], vcc, v[6:7], v[8:9], v[6:7]
	v_mul_f64 v[6:7], v[4:5], v[2:3]
	v_fma_f64 v[0:1], -v[0:1], v[6:7], v[4:5]
	s_nop 1
	v_div_fmas_f64 v[0:1], v[0:1], v[2:3], v[6:7]
	buffer_store_dword v0, off, s[24:27], 0 offset:160 ; 4-byte Folded Spill
	s_nop 0
	buffer_store_dword v1, off, s[24:27], 0 offset:164 ; 4-byte Folded Spill
	buffer_load_dword v0, off, s[24:27], 0 offset:168 ; 4-byte Folded Reload
	s_nop 0
	buffer_load_dword v1, off, s[24:27], 0 offset:172 ; 4-byte Folded Reload
	v_mov_b32_e32 v2, s9
	v_mov_b32_e32 v3, s13
	s_waitcnt vmcnt(0)
	v_ashrrev_i32_e32 v1, 31, v0
	v_lshlrev_b64 v[0:1], 3, v[0:1]
	v_add_co_u32_e32 v54, vcc, s8, v0
	v_addc_co_u32_e32 v55, vcc, v2, v1, vcc
	v_mov_b32_e32 v2, s11
	v_add_co_u32_e32 v52, vcc, s10, v0
	v_addc_co_u32_e32 v53, vcc, v2, v1, vcc
	v_mov_b32_e32 v2, s13
	v_add_co_u32_e32 v60, vcc, s12, v0
	v_addc_co_u32_e32 v61, vcc, v2, v1, vcc
	buffer_load_dword v0, off, s[24:27], 0 offset:136 ; 4-byte Folded Reload
	buffer_load_dword v1, off, s[24:27], 0 offset:140 ; 4-byte Folded Reload
	v_mov_b32_e32 v2, s9
	s_waitcnt vmcnt(0)
	v_ashrrev_i32_e32 v1, 31, v0
	v_lshlrev_b64 v[0:1], 3, v[0:1]
	v_add_co_u32_e32 v34, vcc, s8, v0
	v_addc_co_u32_e32 v35, vcc, v2, v1, vcc
	v_mov_b32_e32 v2, s11
	v_add_co_u32_e32 v44, vcc, s10, v0
	v_addc_co_u32_e32 v45, vcc, v2, v1, vcc
	v_mov_b32_e32 v2, s13
	v_add_co_u32_e32 v38, vcc, s12, v0
	v_addc_co_u32_e32 v39, vcc, v2, v1, vcc
	buffer_load_dword v0, off, s[24:27], 0 offset:104 ; 4-byte Folded Reload
	buffer_load_dword v1, off, s[24:27], 0 offset:108 ; 4-byte Folded Reload
	;; [unrolled: 14-line block ×5, first 2 shown]
	v_mov_b32_e32 v2, s11
	s_waitcnt vmcnt(0)
	v_ashrrev_i32_e32 v1, 31, v0
	v_lshlrev_b64 v[30:31], 3, v[0:1]
	v_mov_b32_e32 v0, s9
	v_add_co_u32_e32 v40, vcc, s8, v30
	v_addc_co_u32_e32 v41, vcc, v0, v31, vcc
	v_mov_b32_e32 v0, s11
	v_add_co_u32_e32 v58, vcc, s10, v30
	v_addc_co_u32_e32 v59, vcc, v0, v31, vcc
	;; [unrolled: 3-line block ×3, first 2 shown]
	buffer_load_dword v0, off, s[24:27], 0 offset:48 ; 4-byte Folded Reload
	buffer_load_dword v1, off, s[24:27], 0 offset:52 ; 4-byte Folded Reload
	s_waitcnt vmcnt(0)
	v_ashrrev_i32_e32 v1, 31, v0
	v_lshlrev_b64 v[46:47], 3, v[0:1]
	v_mov_b32_e32 v0, s9
	v_add_co_u32_e32 v48, vcc, s8, v46
	v_addc_co_u32_e32 v49, vcc, v0, v47, vcc
	v_mov_b32_e32 v0, s11
	v_add_co_u32_e32 v18, vcc, s10, v46
	v_addc_co_u32_e32 v19, vcc, v0, v47, vcc
	;; [unrolled: 3-line block ×3, first 2 shown]
	buffer_load_dword v0, off, s[24:27], 0 offset:112 ; 4-byte Folded Reload
	buffer_load_dword v1, off, s[24:27], 0 offset:116 ; 4-byte Folded Reload
	global_load_dwordx2 v[24:25], v[54:55], off
	s_waitcnt vmcnt(1)
	global_load_dword v36, v[0:1], off offset:28
	v_mov_b32_e32 v1, s9
	s_waitcnt vmcnt(1)
	buffer_store_dword v24, off, s[24:27], 0 offset:120 ; 4-byte Folded Spill
	s_nop 0
	buffer_store_dword v25, off, s[24:27], 0 offset:124 ; 4-byte Folded Spill
	s_waitcnt vmcnt(2)
	v_ashrrev_i32_e32 v37, 31, v36
	v_lshlrev_b64 v[36:37], 3, v[36:37]
	v_add_co_u32_e32 v0, vcc, s8, v36
	v_addc_co_u32_e32 v1, vcc, v1, v37, vcc
	v_add_co_u32_e32 v4, vcc, s10, v36
	v_addc_co_u32_e32 v5, vcc, v2, v37, vcc
	;; [unrolled: 2-line block ×3, first 2 shown]
	global_load_dwordx2 v[36:37], v[48:49], off
	s_waitcnt vmcnt(0)
	buffer_store_dword v36, off, s[24:27], 0 offset:168 ; 4-byte Folded Spill
	s_nop 0
	buffer_store_dword v37, off, s[24:27], 0 offset:172 ; 4-byte Folded Spill
	buffer_load_dword v12, off, s[24:27], 0 offset:152 ; 4-byte Folded Reload
	buffer_load_dword v13, off, s[24:27], 0 offset:156 ; 4-byte Folded Reload
	s_load_dwordx8 s[8:15], s[4:5], 0x60
	s_waitcnt lgkmcnt(0)
	v_mul_f64 v[48:49], s[14:15], 0.5
	s_waitcnt vmcnt(0)
	v_fma_f64 v[54:55], -v[48:49], v[24:25], v[12:13]
	buffer_load_dword v12, off, s[24:27], 0 offset:128 ; 4-byte Folded Reload
	buffer_load_dword v13, off, s[24:27], 0 offset:132 ; 4-byte Folded Reload
	global_load_dwordx2 v[24:25], v[26:27], off
	s_waitcnt vmcnt(0)
	buffer_store_dword v24, off, s[24:27], 0 offset:32 ; 4-byte Folded Spill
	s_nop 0
	buffer_store_dword v25, off, s[24:27], 0 offset:36 ; 4-byte Folded Spill
	v_fma_f64 v[50:51], -v[48:49], v[36:37], v[12:13]
	global_load_dwordx2 v[36:37], v[40:41], off
	s_waitcnt vmcnt(0)
	buffer_store_dword v36, off, s[24:27], 0 offset:48 ; 4-byte Folded Spill
	s_nop 0
	buffer_store_dword v37, off, s[24:27], 0 offset:52 ; 4-byte Folded Spill
	buffer_load_dword v12, off, s[24:27], 0 offset:80 ; 4-byte Folded Reload
	buffer_load_dword v13, off, s[24:27], 0 offset:84 ; 4-byte Folded Reload
	v_add_f64 v[50:51], v[50:51], -v[54:55]
	global_load_dwordx2 v[56:57], v[34:35], off
	global_load_dwordx2 v[54:55], v[0:1], off
	s_nop 0
	buffer_load_dword v0, off, s[24:27], 0 offset:248 ; 4-byte Folded Reload
	buffer_load_dword v1, off, s[24:27], 0 offset:252 ; 4-byte Folded Reload
	v_fma_f64 v[40:41], -v[48:49], v[36:37], v[62:63]
	s_waitcnt vmcnt(4)
	v_fma_f64 v[26:27], -v[48:49], v[24:25], v[12:13]
	buffer_load_dword v12, off, s[24:27], 0 offset:224 ; 4-byte Folded Reload
	buffer_load_dword v13, off, s[24:27], 0 offset:228 ; 4-byte Folded Reload
	s_waitcnt vmcnt(2)
	v_fma_f64 v[0:1], -v[48:49], v[56:57], v[0:1]
	v_add_f64 v[26:27], v[40:41], -v[26:27]
	s_waitcnt vmcnt(0)
	v_fma_f64 v[40:41], -v[48:49], v[54:55], v[12:13]
	global_load_dwordx2 v[12:13], v[16:17], off
	s_waitcnt vmcnt(0)
	buffer_store_dword v12, off, s[24:27], 0 offset:104 ; 4-byte Folded Spill
	s_nop 0
	buffer_store_dword v13, off, s[24:27], 0 offset:108 ; 4-byte Folded Spill
	global_load_dwordx2 v[24:25], v[28:29], off
	s_waitcnt vmcnt(0)
	buffer_store_dword v24, off, s[24:27], 0 offset:112 ; 4-byte Folded Spill
	s_nop 0
	buffer_store_dword v25, off, s[24:27], 0 offset:116 ; 4-byte Folded Spill
	buffer_load_dword v16, off, s[24:27], 0 offset:352 ; 4-byte Folded Reload
	buffer_load_dword v17, off, s[24:27], 0 offset:356 ; 4-byte Folded Reload
	v_add_f64 v[0:1], v[40:41], -v[0:1]
	v_add_f64 v[40:41], v[26:27], v[50:51]
	v_add_f64 v[26:27], v[50:51], -v[26:27]
	global_load_dwordx2 v[62:63], v[52:53], off
	global_load_dwordx2 v[36:37], v[18:19], off
	v_fma_f64 v[28:29], -v[48:49], v[24:25], v[22:23]
	v_add_f64 v[24:25], v[26:27], v[0:1]
	s_waitcnt vmcnt(2)
	v_fma_f64 v[16:17], -v[48:49], v[12:13], v[16:17]
	v_add_f64 v[22:23], v[40:41], -v[0:1]
	v_add_f64 v[28:29], v[28:29], -v[16:17]
	v_add_f64 v[16:17], v[40:41], v[0:1]
	buffer_load_dword v0, off, s[24:27], 0 offset:88 ; 4-byte Folded Reload
	buffer_load_dword v1, off, s[24:27], 0 offset:92 ; 4-byte Folded Reload
	v_add_f64 v[16:17], v[28:29], v[16:17]
	v_ldexp_f64 v[16:17], v[16:17], -3
	s_waitcnt vmcnt(0)
	v_fma_f64 v[18:19], -v[48:49], v[62:63], v[0:1]
	buffer_load_dword v0, off, s[24:27], 0 offset:96 ; 4-byte Folded Reload
	buffer_load_dword v1, off, s[24:27], 0 offset:100 ; 4-byte Folded Reload
	global_load_dwordx2 v[12:13], v[42:43], off
	s_waitcnt vmcnt(0)
	buffer_store_dword v12, off, s[24:27], 0 offset:80 ; 4-byte Folded Spill
	s_nop 0
	buffer_store_dword v13, off, s[24:27], 0 offset:84 ; 4-byte Folded Spill
	v_fma_f64 v[26:27], -v[48:49], v[36:37], v[0:1]
	v_add_f64 v[40:41], v[26:27], -v[18:19]
	global_load_dwordx2 v[26:27], v[58:59], off
	s_waitcnt vmcnt(0)
	buffer_store_dword v26, off, s[24:27], 0 offset:88 ; 4-byte Folded Spill
	s_nop 0
	buffer_store_dword v27, off, s[24:27], 0 offset:92 ; 4-byte Folded Spill
	buffer_load_dword v0, off, s[24:27], 0 offset:40 ; 4-byte Folded Reload
	buffer_load_dword v1, off, s[24:27], 0 offset:44 ; 4-byte Folded Reload
	s_waitcnt vmcnt(0)
	v_fma_f64 v[18:19], -v[48:49], v[12:13], v[0:1]
	buffer_load_dword v0, off, s[24:27], 0 offset:256 ; 4-byte Folded Reload
	buffer_load_dword v1, off, s[24:27], 0 offset:260 ; 4-byte Folded Reload
	s_waitcnt vmcnt(0)
	v_fma_f64 v[42:43], -v[48:49], v[26:27], v[0:1]
	global_load_dwordx2 v[52:53], v[60:61], off
	global_load_dwordx2 v[26:27], v[44:45], off
	s_nop 0
	global_load_dwordx2 v[44:45], v[38:39], off
	s_nop 0
	global_load_dwordx2 v[8:9], v[8:9], off
	s_waitcnt vmcnt(0)
	buffer_store_dword v8, off, s[24:27], 0 offset:40 ; 4-byte Folded Spill
	s_nop 0
	buffer_store_dword v9, off, s[24:27], 0 offset:44 ; 4-byte Folded Spill
	global_load_dwordx2 v[50:51], v[46:47], off
	global_load_dwordx2 v[12:13], v[30:31], off
	s_waitcnt vmcnt(0)
	buffer_store_dword v12, off, s[24:27], 0 offset:96 ; 4-byte Folded Spill
	s_nop 0
	buffer_store_dword v13, off, s[24:27], 0 offset:100 ; 4-byte Folded Spill
	global_load_dwordx2 v[60:61], v[32:33], off
	s_nop 0
	global_load_dwordx2 v[10:11], v[10:11], off
	s_waitcnt vmcnt(0)
	buffer_store_dword v10, off, s[24:27], 0 offset:128 ; 4-byte Folded Spill
	s_nop 0
	buffer_store_dword v11, off, s[24:27], 0 offset:132 ; 4-byte Folded Spill
	v_add_f64 v[42:43], v[42:43], -v[18:19]
	global_load_dwordx2 v[58:59], v[6:7], off
	global_load_dwordx2 v[18:19], v[4:5], off
	global_load_dwordx2 v[38:39], v[14:15], off
	s_waitcnt vmcnt(0)
	buffer_store_dword v38, off, s[24:27], 0 offset:136 ; 4-byte Folded Spill
	s_nop 0
	buffer_store_dword v39, off, s[24:27], 0 offset:140 ; 4-byte Folded Spill
	global_load_dwordx2 v[34:35], v[2:3], off
	buffer_load_dword v0, off, s[24:27], 0 offset:72 ; 4-byte Folded Reload
	buffer_load_dword v1, off, s[24:27], 0 offset:76 ; 4-byte Folded Reload
	s_waitcnt vmcnt(0)
	v_fma_f64 v[4:5], -v[48:49], v[52:53], v[0:1]
	buffer_load_dword v0, off, s[24:27], 0 offset:208 ; 4-byte Folded Reload
	buffer_load_dword v1, off, s[24:27], 0 offset:212 ; 4-byte Folded Reload
	s_waitcnt vmcnt(0)
	v_fma_f64 v[30:31], -v[48:49], v[26:27], v[0:1]
	;; [unrolled: 4-line block ×4, first 2 shown]
	buffer_load_dword v0, off, s[24:27], 0 offset:64 ; 4-byte Folded Reload
	buffer_load_dword v1, off, s[24:27], 0 offset:68 ; 4-byte Folded Reload
	;; [unrolled: 1-line block ×4, first 2 shown]
	s_waitcnt vmcnt(2)
	v_fma_f64 v[0:1], -v[48:49], v[50:51], v[0:1]
	s_waitcnt vmcnt(0)
	v_fma_f64 v[14:15], -v[48:49], v[12:13], v[2:3]
	buffer_load_dword v2, off, s[24:27], 0 offset:8 ; 4-byte Folded Reload
	buffer_load_dword v3, off, s[24:27], 0 offset:12 ; 4-byte Folded Reload
	v_add_f64 v[0:1], v[0:1], -v[4:5]
	v_add_f64 v[4:5], v[14:15], -v[46:47]
	;; [unrolled: 1-line block ×5, first 2 shown]
	v_add_f64 v[28:29], v[42:43], v[40:41]
	s_waitcnt vmcnt(0)
	v_fma_f64 v[8:9], -v[48:49], v[60:61], v[2:3]
	buffer_load_dword v2, off, s[24:27], 0 offset:240 ; 4-byte Folded Reload
	buffer_load_dword v3, off, s[24:27], 0 offset:244 ; 4-byte Folded Reload
	s_waitcnt vmcnt(0)
	v_fma_f64 v[12:13], -v[48:49], v[10:11], v[2:3]
	buffer_load_dword v2, off, s[24:27], 0 offset:184 ; 4-byte Folded Reload
	buffer_load_dword v3, off, s[24:27], 0 offset:188 ; 4-byte Folded Reload
	s_waitcnt vmcnt(0)
	v_fma_f64 v[6:7], -v[48:49], v[58:59], v[2:3]
	buffer_load_dword v2, off, s[24:27], 0  ; 4-byte Folded Reload
	buffer_load_dword v3, off, s[24:27], 0 offset:4 ; 4-byte Folded Reload
	buffer_load_dword v10, off, s[24:27], 0 offset:200 ; 4-byte Folded Reload
	;; [unrolled: 1-line block ×3, first 2 shown]
	v_add_f64 v[6:7], v[6:7], -v[8:9]
	s_waitcnt vmcnt(2)
	v_fma_f64 v[2:3], -v[48:49], v[18:19], v[2:3]
	s_waitcnt vmcnt(0)
	v_fma_f64 v[10:11], -v[48:49], v[38:39], v[10:11]
	buffer_load_dword v38, off, s[24:27], 0 offset:176 ; 4-byte Folded Reload
	buffer_load_dword v39, off, s[24:27], 0 offset:180 ; 4-byte Folded Reload
	v_add_f64 v[2:3], v[2:3], -v[30:31]
	v_add_f64 v[30:31], v[4:5], v[0:1]
	v_add_f64 v[0:1], v[0:1], -v[4:5]
	v_add_f64 v[10:11], v[10:11], -v[12:13]
	v_add_f64 v[4:5], v[24:25], v[2:3]
	v_add_f64 v[24:25], v[28:29], -v[2:3]
	v_add_f64 v[2:3], v[28:29], v[2:3]
	;; [unrolled: 2-line block ×3, first 2 shown]
	v_ldexp_f64 v[4:5], v[4:5], -3
	v_ldexp_f64 v[2:3], v[2:3], -3
	s_waitcnt vmcnt(0)
	v_fma_f64 v[48:49], -v[48:49], v[34:35], v[38:39]
	v_add_f64 v[8:9], v[48:49], -v[32:33]
	v_add_f64 v[12:13], v[30:31], v[8:9]
	v_add_f64 v[28:29], v[30:31], -v[8:9]
	v_add_f64 v[0:1], v[0:1], v[8:9]
	;; [unrolled: 2-line block ×3, first 2 shown]
	v_add_f64 v[12:13], v[28:29], -v[10:11]
	v_add_f64 v[0:1], v[0:1], -v[10:11]
	v_ldexp_f64 v[8:9], v[8:9], -3
	v_ldexp_f64 v[10:11], v[14:15], -3
	;; [unrolled: 1-line block ×6, first 2 shown]
	v_mul_f64 v[0:1], v[8:9], v[6:7]
	v_mul_f64 v[28:29], v[2:3], v[22:23]
	v_fma_f64 v[24:25], v[2:3], v[12:13], -v[0:1]
	v_mul_f64 v[0:1], v[16:17], v[12:13]
	v_fma_f64 v[28:29], v[4:5], v[6:7], -v[28:29]
	v_fma_f64 v[46:47], v[10:11], v[6:7], -v[0:1]
	v_mul_f64 v[0:1], v[16:17], v[4:5]
	v_mul_f64 v[6:7], v[14:15], v[6:7]
	v_fma_f64 v[32:33], v[14:15], v[2:3], -v[0:1]
	v_mul_f64 v[0:1], v[14:15], v[8:9]
	v_mul_f64 v[2:3], v[10:11], v[2:3]
	v_fma_f64 v[6:7], v[16:17], v[22:23], -v[6:7]
	v_fma_f64 v[0:1], v[10:11], v[4:5], -v[0:1]
	v_mul_f64 v[10:11], v[10:11], v[22:23]
	v_fma_f64 v[2:3], v[16:17], v[8:9], -v[2:3]
	v_add_f64 v[16:17], v[6:7], -v[46:47]
	v_fma_f64 v[30:31], v[14:15], v[12:13], -v[10:11]
	v_mul_f64 v[10:11], v[4:5], v[12:13]
	v_mul_f64 v[4:5], v[4:5], v[46:47]
	v_add_f64 v[16:17], v[16:17], -v[30:31]
	v_fma_f64 v[8:9], v[8:9], v[22:23], -v[10:11]
	v_fma_f64 v[4:5], v[14:15], v[24:25], v[4:5]
	v_fma_f64 v[4:5], v[2:3], v[22:23], v[4:5]
	v_ldexp_f64 v[48:49], v[4:5], 3
	v_div_scale_f64 v[4:5], s[0:1], v[48:49], v[48:49], 1.0
	v_rcp_f64_e32 v[10:11], v[4:5]
	v_fma_f64 v[12:13], -v[4:5], v[10:11], 1.0
	v_fma_f64 v[10:11], v[10:11], v[12:13], v[10:11]
	v_fma_f64 v[12:13], -v[4:5], v[10:11], 1.0
	v_fma_f64 v[10:11], v[10:11], v[12:13], v[10:11]
	v_div_scale_f64 v[12:13], vcc, 1.0, v[48:49], 1.0
	v_mul_f64 v[14:15], v[12:13], v[10:11]
	v_fma_f64 v[4:5], -v[4:5], v[14:15], v[12:13]
	s_nop 1
	v_div_fmas_f64 v[4:5], v[4:5], v[10:11], v[14:15]
	buffer_load_dword v10, off, s[24:27], 0 offset:120 ; 4-byte Folded Reload
	buffer_load_dword v11, off, s[24:27], 0 offset:124 ; 4-byte Folded Reload
	;; [unrolled: 1-line block ×4, first 2 shown]
	v_add_f64 v[14:15], v[28:29], -v[24:25]
	v_add_f64 v[14:15], v[14:15], -v[8:9]
	v_div_fixup_f64 v[4:5], v[4:5], v[48:49], 1.0
	s_waitcnt vmcnt(0)
	v_add_f64 v[10:11], v[10:11], -v[12:13]
	v_add_f64 v[12:13], v[56:57], -v[54:55]
	v_mul_f64 v[12:13], v[12:13], v[14:15]
	v_add_f64 v[14:15], -v[28:29], -v[24:25]
	v_add_f64 v[14:15], v[14:15], -v[8:9]
	v_fma_f64 v[10:11], v[10:11], v[14:15], v[12:13]
	v_add_f64 v[14:15], v[26:27], -v[18:19]
	v_add_f64 v[12:13], v[62:63], -v[36:37]
	;; [unrolled: 1-line block ×4, first 2 shown]
	v_mul_f64 v[14:15], v[16:17], v[14:15]
	v_add_f64 v[16:17], -v[6:7], -v[46:47]
	v_add_f64 v[18:19], v[18:19], -v[0:1]
	v_add_f64 v[16:17], v[16:17], -v[30:31]
	v_fma_f64 v[12:13], v[16:17], v[12:13], v[14:15]
	v_add_f64 v[16:17], v[44:45], -v[34:35]
	v_add_f64 v[14:15], v[52:53], -v[50:51]
	v_mul_f64 v[16:17], v[18:19], v[16:17]
	v_add_f64 v[18:19], -v[32:33], -v[2:3]
	v_add_f64 v[18:19], v[18:19], -v[0:1]
	v_fma_f64 v[14:15], v[18:19], v[14:15], v[16:17]
	buffer_load_dword v18, off, s[24:27], 0 offset:192 ; 4-byte Folded Reload
	buffer_load_dword v19, off, s[24:27], 0 offset:196 ; 4-byte Folded Reload
	v_mov_b32_e32 v17, s13
	v_add_co_u32_e32 v16, vcc, s12, v20
	s_load_dwordx8 s[12:19], s[4:5], 0x40
	v_addc_co_u32_e32 v17, vcc, v17, v21, vcc
	s_waitcnt lgkmcnt(0)
	v_mov_b32_e32 v38, s15
	s_waitcnt vmcnt(0)
	global_store_dwordx2 v[16:17], v[18:19], off
	v_mov_b32_e32 v17, s13
	v_add_co_u32_e32 v16, vcc, s12, v20
	v_addc_co_u32_e32 v17, vcc, v17, v21, vcc
	global_load_dwordx2 v[16:17], v[16:17], off
	s_waitcnt vmcnt(0)
	v_add_f64 v[16:17], v[18:19], -v[16:17]
	buffer_load_dword v18, off, s[24:27], 0 offset:104 ; 4-byte Folded Reload
	buffer_load_dword v19, off, s[24:27], 0 offset:108 ; 4-byte Folded Reload
	;; [unrolled: 1-line block ×8, first 2 shown]
	s_waitcnt vmcnt(4)
	v_add_f64 v[18:19], v[18:19], -v[22:23]
	v_add_f64 v[22:23], v[28:29], v[24:25]
	v_add_f64 v[24:25], v[24:25], -v[28:29]
	s_waitcnt vmcnt(0)
	v_add_f64 v[34:35], v[34:35], -v[36:37]
	v_add_f64 v[36:37], v[32:33], v[2:3]
	v_add_f64 v[2:3], v[2:3], -v[32:33]
	v_add_f64 v[28:29], v[6:7], v[46:47]
	v_add_f64 v[6:7], v[46:47], -v[6:7]
	v_add_f64 v[22:23], v[22:23], -v[8:9]
	;; [unrolled: 1-line block ×7, first 2 shown]
	v_fma_f64 v[10:11], v[18:19], v[22:23], v[10:11]
	buffer_load_dword v18, off, s[24:27], 0 offset:32 ; 4-byte Folded Reload
	buffer_load_dword v19, off, s[24:27], 0 offset:36 ; 4-byte Folded Reload
	;; [unrolled: 1-line block ×4, first 2 shown]
	v_fma_f64 v[14:15], v[36:37], v[34:35], v[14:15]
	v_fma_f64 v[12:13], v[28:29], v[26:27], v[12:13]
	s_waitcnt vmcnt(0)
	v_add_f64 v[18:19], v[18:19], -v[22:23]
	buffer_load_dword v22, off, s[24:27], 0 offset:80 ; 4-byte Folded Reload
	buffer_load_dword v23, off, s[24:27], 0 offset:84 ; 4-byte Folded Reload
	;; [unrolled: 1-line block ×4, first 2 shown]
	v_fma_f64 v[8:9], v[8:9], v[18:19], v[10:11]
	v_mov_b32_e32 v10, s17
	s_waitcnt vmcnt(0)
	v_add_f64 v[22:23], v[22:23], -v[24:25]
	buffer_load_dword v2, off, s[24:27], 0 offset:40 ; 4-byte Folded Reload
	buffer_load_dword v3, off, s[24:27], 0 offset:44 ; 4-byte Folded Reload
	;; [unrolled: 1-line block ×4, first 2 shown]
	v_fma_f64 v[6:7], v[6:7], v[22:23], v[12:13]
	v_mul_f64 v[6:7], v[4:5], v[6:7]
	s_waitcnt vmcnt(0)
	v_add_f64 v[2:3], v[2:3], -v[24:25]
	v_add_co_u32_e32 v24, vcc, s14, v20
	v_addc_co_u32_e32 v25, vcc, v38, v21, vcc
	global_store_dwordx2 v[24:25], v[16:17], off
	buffer_load_dword v16, off, s[24:27], 0 offset:24 ; 4-byte Folded Reload
	s_nop 0
	buffer_load_dword v17, off, s[24:27], 0 offset:28 ; 4-byte Folded Reload
	buffer_load_dword v24, off, s[24:27], 0 offset:144 ; 4-byte Folded Reload
	;; [unrolled: 1-line block ×5, first 2 shown]
	v_fma_f64 v[0:1], v[0:1], v[2:3], v[14:15]
	v_add_co_u32_e32 v2, vcc, s16, v20
	v_addc_co_u32_e32 v3, vcc, v10, v21, vcc
	v_mul_f64 v[0:1], v[4:5], v[0:1]
	s_waitcnt vmcnt(0)
	v_div_fixup_f64 v[16:17], v[26:27], v[24:25], v[16:17]
	global_store_dwordx2 v[2:3], v[16:17], off
	v_mul_f64 v[2:3], v[4:5], v[8:9]
	v_mov_b32_e32 v5, s19
	v_add_co_u32_e32 v4, vcc, s18, v20
	v_addc_co_u32_e32 v5, vcc, v5, v21, vcc
	global_store_dwordx2 v[4:5], v[2:3], off
	v_mov_b32_e32 v3, s9
	v_add_co_u32_e32 v2, vcc, s8, v20
	v_addc_co_u32_e32 v3, vcc, v3, v21, vcc
	global_store_dwordx2 v[2:3], v[6:7], off
	;; [unrolled: 4-line block ×3, first 2 shown]
.LBB10_2:
	s_endpgm
	.section	.rodata,"a",@progbits
	.p2align	6, 0x0
	.amdhsa_kernel _Z22calcKinematicsForElemsPKdS0_S0_S0_S0_S0_PKiS0_S0_PdS3_S3_S3_S3_S3_di
		.amdhsa_group_segment_fixed_size 0
		.amdhsa_private_segment_fixed_size 412
		.amdhsa_kernarg_size 392
		.amdhsa_user_sgpr_count 6
		.amdhsa_user_sgpr_private_segment_buffer 1
		.amdhsa_user_sgpr_dispatch_ptr 0
		.amdhsa_user_sgpr_queue_ptr 0
		.amdhsa_user_sgpr_kernarg_segment_ptr 1
		.amdhsa_user_sgpr_dispatch_id 0
		.amdhsa_user_sgpr_flat_scratch_init 0
		.amdhsa_user_sgpr_private_segment_size 0
		.amdhsa_uses_dynamic_stack 0
		.amdhsa_system_sgpr_private_segment_wavefront_offset 1
		.amdhsa_system_sgpr_workgroup_id_x 1
		.amdhsa_system_sgpr_workgroup_id_y 0
		.amdhsa_system_sgpr_workgroup_id_z 0
		.amdhsa_system_sgpr_workgroup_info 0
		.amdhsa_system_vgpr_workitem_id 0
		.amdhsa_next_free_vgpr 64
		.amdhsa_next_free_sgpr 28
		.amdhsa_reserve_vcc 1
		.amdhsa_reserve_flat_scratch 0
		.amdhsa_float_round_mode_32 0
		.amdhsa_float_round_mode_16_64 0
		.amdhsa_float_denorm_mode_32 3
		.amdhsa_float_denorm_mode_16_64 3
		.amdhsa_dx10_clamp 1
		.amdhsa_ieee_mode 1
		.amdhsa_fp16_overflow 0
		.amdhsa_exception_fp_ieee_invalid_op 0
		.amdhsa_exception_fp_denorm_src 0
		.amdhsa_exception_fp_ieee_div_zero 0
		.amdhsa_exception_fp_ieee_overflow 0
		.amdhsa_exception_fp_ieee_underflow 0
		.amdhsa_exception_fp_ieee_inexact 0
		.amdhsa_exception_int_div_zero 0
	.end_amdhsa_kernel
	.text
.Lfunc_end10:
	.size	_Z22calcKinematicsForElemsPKdS0_S0_S0_S0_S0_PKiS0_S0_PdS3_S3_S3_S3_S3_di, .Lfunc_end10-_Z22calcKinematicsForElemsPKdS0_S0_S0_S0_S0_PKiS0_S0_PdS3_S3_S3_S3_S3_di
                                        ; -- End function
	.set _Z22calcKinematicsForElemsPKdS0_S0_S0_S0_S0_PKiS0_S0_PdS3_S3_S3_S3_S3_di.num_vgpr, 64
	.set _Z22calcKinematicsForElemsPKdS0_S0_S0_S0_S0_PKiS0_S0_PdS3_S3_S3_S3_S3_di.num_agpr, 0
	.set _Z22calcKinematicsForElemsPKdS0_S0_S0_S0_S0_PKiS0_S0_PdS3_S3_S3_S3_S3_di.numbered_sgpr, 28
	.set _Z22calcKinematicsForElemsPKdS0_S0_S0_S0_S0_PKiS0_S0_PdS3_S3_S3_S3_S3_di.num_named_barrier, 0
	.set _Z22calcKinematicsForElemsPKdS0_S0_S0_S0_S0_PKiS0_S0_PdS3_S3_S3_S3_S3_di.private_seg_size, 412
	.set _Z22calcKinematicsForElemsPKdS0_S0_S0_S0_S0_PKiS0_S0_PdS3_S3_S3_S3_S3_di.uses_vcc, 1
	.set _Z22calcKinematicsForElemsPKdS0_S0_S0_S0_S0_PKiS0_S0_PdS3_S3_S3_S3_S3_di.uses_flat_scratch, 0
	.set _Z22calcKinematicsForElemsPKdS0_S0_S0_S0_S0_PKiS0_S0_PdS3_S3_S3_S3_S3_di.has_dyn_sized_stack, 0
	.set _Z22calcKinematicsForElemsPKdS0_S0_S0_S0_S0_PKiS0_S0_PdS3_S3_S3_S3_S3_di.has_recursion, 0
	.set _Z22calcKinematicsForElemsPKdS0_S0_S0_S0_S0_PKiS0_S0_PdS3_S3_S3_S3_S3_di.has_indirect_call, 0
	.section	.AMDGPU.csdata,"",@progbits
; Kernel info:
; codeLenInByte = 7888
; TotalNumSgprs: 32
; NumVgprs: 64
; ScratchSize: 412
; MemoryBound: 0
; FloatMode: 240
; IeeeMode: 1
; LDSByteSize: 0 bytes/workgroup (compile time only)
; SGPRBlocks: 3
; VGPRBlocks: 15
; NumSGPRsForWavesPerEU: 32
; NumVGPRsForWavesPerEU: 64
; Occupancy: 4
; WaveLimiterHint : 1
; COMPUTE_PGM_RSRC2:SCRATCH_EN: 1
; COMPUTE_PGM_RSRC2:USER_SGPR: 6
; COMPUTE_PGM_RSRC2:TRAP_HANDLER: 0
; COMPUTE_PGM_RSRC2:TGID_X_EN: 1
; COMPUTE_PGM_RSRC2:TGID_Y_EN: 0
; COMPUTE_PGM_RSRC2:TGID_Z_EN: 0
; COMPUTE_PGM_RSRC2:TIDIG_COMP_CNT: 0
	.text
	.protected	_Z15calcStrainRatesPdS_S_PKdS_Pii ; -- Begin function _Z15calcStrainRatesPdS_S_PKdS_Pii
	.globl	_Z15calcStrainRatesPdS_S_PKdS_Pii
	.p2align	8
	.type	_Z15calcStrainRatesPdS_S_PKdS_Pii,@function
_Z15calcStrainRatesPdS_S_PKdS_Pii:      ; @_Z15calcStrainRatesPdS_S_PKdS_Pii
; %bb.0:
	s_load_dword s0, s[4:5], 0x44
	s_load_dword s1, s[4:5], 0x30
	s_waitcnt lgkmcnt(0)
	s_and_b32 s0, s0, 0xffff
	s_mul_i32 s6, s6, s0
	v_add_u32_e32 v0, s6, v0
	v_cmp_gt_i32_e32 vcc, s1, v0
	s_and_saveexec_b64 s[0:1], vcc
	s_cbranch_execz .LBB11_3
; %bb.1:
	s_load_dwordx8 s[8:15], s[4:5], 0x0
	v_ashrrev_i32_e32 v1, 31, v0
	v_lshlrev_b64 v[1:2], 3, v[0:1]
	s_mov_b32 s0, 0
	s_mov_b32 s1, 0x40080000
	s_waitcnt lgkmcnt(0)
	v_mov_b32_e32 v4, s9
	v_add_co_u32_e32 v3, vcc, s8, v1
	v_addc_co_u32_e32 v4, vcc, v4, v2, vcc
	v_mov_b32_e32 v8, s11
	v_add_co_u32_e32 v7, vcc, s10, v1
	v_addc_co_u32_e32 v8, vcc, v8, v2, vcc
	global_load_dwordx2 v[5:6], v[3:4], off
	global_load_dwordx2 v[9:10], v[7:8], off
	v_mov_b32_e32 v12, s13
	v_add_co_u32_e32 v11, vcc, s12, v1
	v_addc_co_u32_e32 v12, vcc, v12, v2, vcc
	global_load_dwordx2 v[13:14], v[11:12], off
	s_waitcnt vmcnt(1)
	v_add_f64 v[15:16], v[5:6], v[9:10]
	s_waitcnt vmcnt(0)
	v_add_f64 v[15:16], v[15:16], v[13:14]
	v_div_scale_f64 v[17:18], s[2:3], s[0:1], s[0:1], v[15:16]
	v_rcp_f64_e32 v[19:20], v[17:18]
	v_fma_f64 v[21:22], -v[17:18], v[19:20], 1.0
	v_fma_f64 v[19:20], v[19:20], v[21:22], v[19:20]
	v_fma_f64 v[21:22], -v[17:18], v[19:20], 1.0
	v_fma_f64 v[19:20], v[19:20], v[21:22], v[19:20]
	v_div_scale_f64 v[21:22], vcc, v[15:16], s[0:1], v[15:16]
	v_mul_f64 v[23:24], v[21:22], v[19:20]
	v_fma_f64 v[17:18], -v[17:18], v[23:24], v[21:22]
	s_nop 1
	v_div_fmas_f64 v[17:18], v[17:18], v[19:20], v[23:24]
	v_mov_b32_e32 v20, s15
	v_add_co_u32_e32 v19, vcc, s14, v1
	v_addc_co_u32_e32 v20, vcc, v20, v2, vcc
	global_load_dwordx2 v[19:20], v[19:20], off
	v_div_fixup_f64 v[17:18], v[17:18], s[0:1], v[15:16]
	s_load_dwordx2 s[0:1], s[4:5], 0x20
	s_waitcnt lgkmcnt(0)
	v_mov_b32_e32 v21, s1
	v_add_co_u32_e64 v1, s[0:1], s0, v1
	v_add_f64 v[5:6], v[5:6], -v[17:18]
	v_add_f64 v[9:10], v[9:10], -v[17:18]
	;; [unrolled: 1-line block ×3, first 2 shown]
	v_addc_co_u32_e64 v2, s[0:1], v21, v2, s[0:1]
	global_store_dwordx2 v[1:2], v[15:16], off
	global_store_dwordx2 v[3:4], v[5:6], off
	;; [unrolled: 1-line block ×4, first 2 shown]
	s_waitcnt vmcnt(4)
	v_cmp_ge_f64_e32 vcc, 0, v[19:20]
	s_and_b64 exec, exec, vcc
	s_cbranch_execz .LBB11_3
; %bb.2:
	s_load_dwordx2 s[0:1], s[4:5], 0x28
	v_mov_b32_e32 v1, 0
	s_waitcnt lgkmcnt(0)
	global_store_dword v1, v0, s[0:1]
.LBB11_3:
	s_endpgm
	.section	.rodata,"a",@progbits
	.p2align	6, 0x0
	.amdhsa_kernel _Z15calcStrainRatesPdS_S_PKdS_Pii
		.amdhsa_group_segment_fixed_size 0
		.amdhsa_private_segment_fixed_size 0
		.amdhsa_kernarg_size 312
		.amdhsa_user_sgpr_count 6
		.amdhsa_user_sgpr_private_segment_buffer 1
		.amdhsa_user_sgpr_dispatch_ptr 0
		.amdhsa_user_sgpr_queue_ptr 0
		.amdhsa_user_sgpr_kernarg_segment_ptr 1
		.amdhsa_user_sgpr_dispatch_id 0
		.amdhsa_user_sgpr_flat_scratch_init 0
		.amdhsa_user_sgpr_private_segment_size 0
		.amdhsa_uses_dynamic_stack 0
		.amdhsa_system_sgpr_private_segment_wavefront_offset 0
		.amdhsa_system_sgpr_workgroup_id_x 1
		.amdhsa_system_sgpr_workgroup_id_y 0
		.amdhsa_system_sgpr_workgroup_id_z 0
		.amdhsa_system_sgpr_workgroup_info 0
		.amdhsa_system_vgpr_workitem_id 0
		.amdhsa_next_free_vgpr 25
		.amdhsa_next_free_sgpr 16
		.amdhsa_reserve_vcc 1
		.amdhsa_reserve_flat_scratch 0
		.amdhsa_float_round_mode_32 0
		.amdhsa_float_round_mode_16_64 0
		.amdhsa_float_denorm_mode_32 3
		.amdhsa_float_denorm_mode_16_64 3
		.amdhsa_dx10_clamp 1
		.amdhsa_ieee_mode 1
		.amdhsa_fp16_overflow 0
		.amdhsa_exception_fp_ieee_invalid_op 0
		.amdhsa_exception_fp_denorm_src 0
		.amdhsa_exception_fp_ieee_div_zero 0
		.amdhsa_exception_fp_ieee_overflow 0
		.amdhsa_exception_fp_ieee_underflow 0
		.amdhsa_exception_fp_ieee_inexact 0
		.amdhsa_exception_int_div_zero 0
	.end_amdhsa_kernel
	.text
.Lfunc_end11:
	.size	_Z15calcStrainRatesPdS_S_PKdS_Pii, .Lfunc_end11-_Z15calcStrainRatesPdS_S_PKdS_Pii
                                        ; -- End function
	.set _Z15calcStrainRatesPdS_S_PKdS_Pii.num_vgpr, 25
	.set _Z15calcStrainRatesPdS_S_PKdS_Pii.num_agpr, 0
	.set _Z15calcStrainRatesPdS_S_PKdS_Pii.numbered_sgpr, 16
	.set _Z15calcStrainRatesPdS_S_PKdS_Pii.num_named_barrier, 0
	.set _Z15calcStrainRatesPdS_S_PKdS_Pii.private_seg_size, 0
	.set _Z15calcStrainRatesPdS_S_PKdS_Pii.uses_vcc, 1
	.set _Z15calcStrainRatesPdS_S_PKdS_Pii.uses_flat_scratch, 0
	.set _Z15calcStrainRatesPdS_S_PKdS_Pii.has_dyn_sized_stack, 0
	.set _Z15calcStrainRatesPdS_S_PKdS_Pii.has_recursion, 0
	.set _Z15calcStrainRatesPdS_S_PKdS_Pii.has_indirect_call, 0
	.section	.AMDGPU.csdata,"",@progbits
; Kernel info:
; codeLenInByte = 408
; TotalNumSgprs: 20
; NumVgprs: 25
; ScratchSize: 0
; MemoryBound: 0
; FloatMode: 240
; IeeeMode: 1
; LDSByteSize: 0 bytes/workgroup (compile time only)
; SGPRBlocks: 2
; VGPRBlocks: 6
; NumSGPRsForWavesPerEU: 20
; NumVGPRsForWavesPerEU: 25
; Occupancy: 9
; WaveLimiterHint : 0
; COMPUTE_PGM_RSRC2:SCRATCH_EN: 0
; COMPUTE_PGM_RSRC2:USER_SGPR: 6
; COMPUTE_PGM_RSRC2:TRAP_HANDLER: 0
; COMPUTE_PGM_RSRC2:TGID_X_EN: 1
; COMPUTE_PGM_RSRC2:TGID_Y_EN: 0
; COMPUTE_PGM_RSRC2:TGID_Z_EN: 0
; COMPUTE_PGM_RSRC2:TIDIG_COMP_CNT: 0
	.text
	.protected	_Z31calcMonotonicQGradientsForElemsPKdS0_S0_S0_S0_S0_PKiS0_PdS3_S3_S3_S3_S3_S0_i ; -- Begin function _Z31calcMonotonicQGradientsForElemsPKdS0_S0_S0_S0_S0_PKiS0_PdS3_S3_S3_S3_S3_S0_i
	.globl	_Z31calcMonotonicQGradientsForElemsPKdS0_S0_S0_S0_S0_PKiS0_PdS3_S3_S3_S3_S3_S0_i
	.p2align	8
	.type	_Z31calcMonotonicQGradientsForElemsPKdS0_S0_S0_S0_S0_PKiS0_PdS3_S3_S3_S3_S3_S0_i,@function
_Z31calcMonotonicQGradientsForElemsPKdS0_S0_S0_S0_S0_PKiS0_PdS3_S3_S3_S3_S3_S0_i: ; @_Z31calcMonotonicQGradientsForElemsPKdS0_S0_S0_S0_S0_PKiS0_PdS3_S3_S3_S3_S3_S0_i
; %bb.0:
	s_mov_b64 s[38:39], s[2:3]
	s_mov_b64 s[36:37], s[0:1]
	s_load_dword s0, s[4:5], 0x8c
	s_load_dword s1, s[4:5], 0x78
	s_add_u32 s36, s36, s7
	s_addc_u32 s37, s37, 0
	s_waitcnt lgkmcnt(0)
	s_and_b32 s0, s0, 0xffff
	s_mul_i32 s6, s6, s0
	v_add_u32_e32 v58, s6, v0
	v_cmp_gt_i32_e32 vcc, s1, v58
	s_and_saveexec_b64 s[0:1], vcc
	s_cbranch_execz .LBB12_2
; %bb.1:
	s_load_dwordx2 s[6:7], s[4:5], 0x70
	s_load_dwordx4 s[0:3], s[4:5], 0x60
	s_load_dwordx8 s[8:15], s[4:5], 0x40
	s_load_dwordx8 s[16:23], s[4:5], 0x0
	;; [unrolled: 1-line block ×3, first 2 shown]
	v_lshlrev_b32_e32 v0, 3, v58
	v_ashrrev_i32_e32 v1, 31, v0
	v_lshlrev_b64 v[0:1], 2, v[0:1]
	v_ashrrev_i32_e32 v59, 31, v58
	s_waitcnt lgkmcnt(0)
	v_add_co_u32_e32 v9, vcc, s28, v0
	v_mov_b32_e32 v0, s29
	v_addc_co_u32_e32 v10, vcc, v0, v1, vcc
	global_load_dwordx4 v[0:3], v[9:10], off offset:16
	global_load_dwordx4 v[4:7], v[9:10], off
	s_mov_b32 s4, 0x932d2e72
	s_mov_b32 s5, 0x38754484
	s_waitcnt vmcnt(0)
	v_ashrrev_i32_e32 v10, 31, v4
	v_mov_b32_e32 v9, v4
	v_lshlrev_b64 v[20:21], 3, v[9:10]
	v_mov_b32_e32 v4, s23
	v_add_co_u32_e32 v9, vcc, s22, v20
	v_addc_co_u32_e32 v10, vcc, v4, v21, vcc
	global_load_dwordx2 v[34:35], v[9:10], off
	v_ashrrev_i32_e32 v10, 31, v5
	v_mov_b32_e32 v9, v5
	v_lshlrev_b64 v[10:11], 3, v[9:10]
	v_mov_b32_e32 v5, s23
	v_add_co_u32_e32 v4, vcc, s22, v10
	v_addc_co_u32_e32 v5, vcc, v5, v11, vcc
	global_load_dwordx2 v[46:47], v[4:5], off
	;; [unrolled: 7-line block ×3, first 2 shown]
	s_waitcnt vmcnt(0)
	buffer_store_dword v4, off, s[36:39], 0 offset:64 ; 4-byte Folded Spill
	s_nop 0
	buffer_store_dword v5, off, s[36:39], 0 offset:68 ; 4-byte Folded Spill
	v_ashrrev_i32_e32 v5, 31, v7
	v_mov_b32_e32 v4, v7
	v_lshlrev_b64 v[40:41], 3, v[4:5]
	v_mov_b32_e32 v5, s23
	v_add_co_u32_e32 v4, vcc, s22, v40
	v_addc_co_u32_e32 v5, vcc, v5, v41, vcc
	global_load_dwordx2 v[4:5], v[4:5], off
	s_waitcnt vmcnt(0)
	buffer_store_dword v4, off, s[36:39], 0 offset:72 ; 4-byte Folded Spill
	s_nop 0
	buffer_store_dword v5, off, s[36:39], 0 offset:76 ; 4-byte Folded Spill
	v_ashrrev_i32_e32 v5, 31, v0
	v_mov_b32_e32 v4, v0
	v_lshlrev_b64 v[8:9], 3, v[4:5]
	v_mov_b32_e32 v0, s23
	v_add_co_u32_e32 v4, vcc, s22, v8
	v_addc_co_u32_e32 v5, vcc, v0, v9, vcc
	global_load_dwordx2 v[48:49], v[4:5], off
	v_ashrrev_i32_e32 v5, 31, v1
	v_mov_b32_e32 v4, v1
	v_lshlrev_b64 v[6:7], 3, v[4:5]
	v_mov_b32_e32 v1, s23
	v_add_co_u32_e32 v0, vcc, s22, v6
	v_addc_co_u32_e32 v1, vcc, v1, v7, vcc
	global_load_dwordx2 v[22:23], v[0:1], off
	;; [unrolled: 7-line block ×3, first 2 shown]
	v_ashrrev_i32_e32 v14, 31, v3
	v_mov_b32_e32 v13, v3
	v_lshlrev_b64 v[2:3], 3, v[13:14]
	v_add_co_u32_e32 v13, vcc, s22, v2
	v_addc_co_u32_e32 v14, vcc, v0, v3, vcc
	global_load_dwordx2 v[26:27], v[13:14], off
	v_add_co_u32_e32 v13, vcc, s24, v20
	v_mov_b32_e32 v0, s25
	v_addc_co_u32_e32 v14, vcc, v0, v21, vcc
	global_load_dwordx2 v[32:33], v[13:14], off
	v_add_co_u32_e32 v13, vcc, s24, v10
	v_addc_co_u32_e32 v14, vcc, v0, v11, vcc
	v_add_co_u32_e32 v16, vcc, s24, v38
	v_addc_co_u32_e32 v17, vcc, v0, v39, vcc
	global_load_dwordx2 v[14:15], v[13:14], off
	s_nop 0
	global_load_dwordx2 v[28:29], v[16:17], off
	v_add_co_u32_e32 v16, vcc, s24, v40
	v_addc_co_u32_e32 v17, vcc, v0, v41, vcc
	global_load_dwordx2 v[44:45], v[16:17], off
	v_add_co_u32_e32 v16, vcc, s24, v8
	v_addc_co_u32_e32 v17, vcc, v0, v9, vcc
	;; [unrolled: 3-line block ×4, first 2 shown]
	global_load_dwordx2 v[0:1], v[16:17], off
	v_add_co_u32_e32 v16, vcc, s24, v2
	s_waitcnt vmcnt(0)
	buffer_store_dword v0, off, s[36:39], 0 offset:264 ; 4-byte Folded Spill
	s_nop 0
	buffer_store_dword v1, off, s[36:39], 0 offset:268 ; 4-byte Folded Spill
	v_mov_b32_e32 v0, s25
	v_addc_co_u32_e32 v17, vcc, v0, v3, vcc
	v_add_co_u32_e32 v18, vcc, s26, v20
	v_mov_b32_e32 v0, s27
	v_addc_co_u32_e32 v19, vcc, v0, v21, vcc
	global_load_dwordx2 v[0:1], v[18:19], off
	global_load_dwordx2 v[42:43], v[16:17], off
	v_add_co_u32_e32 v18, vcc, s26, v10
	v_mov_b32_e32 v16, v24
	v_mov_b32_e32 v17, v25
	s_waitcnt vmcnt(1)
	buffer_store_dword v0, off, s[36:39], 0 offset:216 ; 4-byte Folded Spill
	s_nop 0
	buffer_store_dword v1, off, s[36:39], 0 offset:220 ; 4-byte Folded Spill
	v_mov_b32_e32 v0, s27
	v_addc_co_u32_e32 v19, vcc, v0, v11, vcc
	global_load_dwordx2 v[0:1], v[18:19], off
	v_add_co_u32_e32 v18, vcc, s26, v38
	s_waitcnt vmcnt(0)
	buffer_store_dword v0, off, s[36:39], 0 offset:272 ; 4-byte Folded Spill
	s_nop 0
	buffer_store_dword v1, off, s[36:39], 0 offset:276 ; 4-byte Folded Spill
	v_mov_b32_e32 v0, s27
	v_addc_co_u32_e32 v19, vcc, v0, v39, vcc
	global_load_dwordx2 v[0:1], v[18:19], off
	v_add_co_u32_e32 v18, vcc, s26, v40
	;; [unrolled: 8-line block ×4, first 2 shown]
	v_addc_co_u32_e32 v19, vcc, v0, v7, vcc
	global_load_dwordx2 v[60:61], v[18:19], off
	v_add_co_u32_e32 v18, vcc, s26, v4
	v_addc_co_u32_e32 v19, vcc, v0, v5, vcc
	global_load_dwordx2 v[56:57], v[18:19], off
	v_add_co_u32_e32 v18, vcc, s26, v2
	v_addc_co_u32_e32 v19, vcc, v0, v3, vcc
	v_add_co_u32_e32 v0, vcc, s16, v20
	v_mov_b32_e32 v1, s17
	v_addc_co_u32_e32 v1, vcc, v1, v21, vcc
	global_load_dwordx2 v[0:1], v[0:1], off
	s_nop 0
	global_load_dwordx2 v[54:55], v[18:19], off
	v_mov_b32_e32 v18, v36
	v_mov_b32_e32 v19, v37
	s_waitcnt vmcnt(1)
	buffer_store_dword v0, off, s[36:39], 0 offset:48 ; 4-byte Folded Spill
	s_nop 0
	buffer_store_dword v1, off, s[36:39], 0 offset:52 ; 4-byte Folded Spill
	v_add_co_u32_e32 v0, vcc, s16, v10
	v_mov_b32_e32 v1, s17
	v_addc_co_u32_e32 v1, vcc, v1, v11, vcc
	global_load_dwordx2 v[0:1], v[0:1], off
	s_waitcnt vmcnt(0)
	buffer_store_dword v0, off, s[36:39], 0 ; 4-byte Folded Spill
	s_nop 0
	buffer_store_dword v1, off, s[36:39], 0 offset:4 ; 4-byte Folded Spill
	v_add_co_u32_e32 v0, vcc, s16, v38
	v_mov_b32_e32 v1, s17
	v_addc_co_u32_e32 v1, vcc, v1, v39, vcc
	global_load_dwordx2 v[0:1], v[0:1], off
	s_waitcnt vmcnt(0)
	buffer_store_dword v0, off, s[36:39], 0 offset:8 ; 4-byte Folded Spill
	s_nop 0
	buffer_store_dword v1, off, s[36:39], 0 offset:12 ; 4-byte Folded Spill
	v_add_co_u32_e32 v0, vcc, s16, v40
	v_mov_b32_e32 v1, s17
	v_addc_co_u32_e32 v1, vcc, v1, v41, vcc
	global_load_dwordx2 v[0:1], v[0:1], off
	s_waitcnt vmcnt(0)
	buffer_store_dword v0, off, s[36:39], 0 offset:16 ; 4-byte Folded Spill
	;; [unrolled: 8-line block ×22, first 2 shown]
	s_nop 0
	buffer_store_dword v1, off, s[36:39], 0 offset:140 ; 4-byte Folded Spill
	v_lshlrev_b64 v[0:1], 3, v[58:59]
	buffer_store_dword v0, off, s[36:39], 0 offset:280 ; 4-byte Folded Spill
	s_nop 0
	buffer_store_dword v1, off, s[36:39], 0 offset:284 ; 4-byte Folded Spill
	v_mov_b32_e32 v3, s31
	v_mov_b32_e32 v5, s7
	;; [unrolled: 1-line block ×8, first 2 shown]
	v_add_co_u32_e32 v2, vcc, s30, v0
	v_addc_co_u32_e32 v3, vcc, v3, v1, vcc
	v_add_co_u32_e32 v4, vcc, s6, v0
	v_addc_co_u32_e32 v5, vcc, v5, v1, vcc
	global_load_dwordx2 v[2:3], v[2:3], off
	s_nop 0
	global_load_dwordx2 v[4:5], v[4:5], off
	s_waitcnt vmcnt(0)
	v_mul_f64 v[0:1], v[2:3], v[4:5]
	v_fma_f64 v[2:3], v[2:3], v[4:5], s[4:5]
	buffer_store_dword v0, off, s[36:39], 0 offset:208 ; 4-byte Folded Spill
	s_nop 0
	buffer_store_dword v1, off, s[36:39], 0 offset:212 ; 4-byte Folded Spill
	v_div_scale_f64 v[4:5], s[6:7], v[2:3], v[2:3], 1.0
	s_mov_b32 s6, 0
	s_brev_b32 s7, 8
	v_rcp_f64_e32 v[6:7], v[4:5]
	v_fma_f64 v[8:9], -v[4:5], v[6:7], 1.0
	v_fma_f64 v[6:7], v[6:7], v[8:9], v[6:7]
	v_fma_f64 v[8:9], -v[4:5], v[6:7], 1.0
	v_fma_f64 v[6:7], v[6:7], v[8:9], v[6:7]
	v_div_scale_f64 v[8:9], vcc, 1.0, v[2:3], 1.0
	v_mul_f64 v[10:11], v[8:9], v[6:7]
	v_fma_f64 v[4:5], -v[4:5], v[10:11], v[8:9]
	s_nop 1
	v_div_fmas_f64 v[4:5], v[4:5], v[6:7], v[10:11]
	v_mov_b32_e32 v6, v46
	v_mov_b32_e32 v7, v47
	v_add_f64 v[50:51], v[58:59], v[6:7]
	v_mov_b32_e32 v47, v23
	v_mov_b32_e32 v46, v22
	;; [unrolled: 1-line block ×4, first 2 shown]
	v_add_f64 v[36:37], v[22:23], v[14:15]
	v_add_f64 v[14:15], v[14:15], v[28:29]
	v_div_fixup_f64 v[0:1], v[4:5], v[2:3], 1.0
	buffer_store_dword v0, off, s[36:39], 0 offset:240 ; 4-byte Folded Spill
	s_nop 0
	buffer_store_dword v1, off, s[36:39], 0 offset:244 ; 4-byte Folded Spill
	buffer_load_dword v8, off, s[36:39], 0 offset:64 ; 4-byte Folded Reload
	buffer_load_dword v9, off, s[36:39], 0 offset:68 ; 4-byte Folded Reload
	;; [unrolled: 1-line block ×6, first 2 shown]
	v_add_f64 v[2:3], v[50:51], v[46:47]
	buffer_load_dword v12, off, s[36:39], 0 offset:216 ; 4-byte Folded Reload
	buffer_load_dword v13, off, s[36:39], 0 offset:220 ; 4-byte Folded Reload
	buffer_load_dword v10, off, s[36:39], 0 offset:272 ; 4-byte Folded Reload
	buffer_load_dword v11, off, s[36:39], 0 offset:276 ; 4-byte Folded Reload
	v_add_f64 v[2:3], v[48:49], v[2:3]
	s_waitcnt vmcnt(6)
	v_add_f64 v[4:5], v[8:9], v[30:31]
	s_waitcnt vmcnt(4)
	;; [unrolled: 2-line block ×3, first 2 shown]
	v_add_f64 v[32:33], v[12:13], v[10:11]
	v_add_f64 v[4:5], v[4:5], v[18:19]
	;; [unrolled: 1-line block ×4, first 2 shown]
	v_add_f64 v[2:3], v[2:3], -v[4:5]
	v_add_f64 v[4:5], v[28:29], v[34:35]
	v_ldexp_f64 v[52:53], -v[2:3], -2
	v_add_f64 v[2:3], v[36:37], v[38:39]
	v_add_f64 v[4:5], v[4:5], v[24:25]
	;; [unrolled: 1-line block ×4, first 2 shown]
	v_add_f64 v[2:3], v[2:3], -v[4:5]
	buffer_load_dword v0, off, s[36:39], 0 offset:248 ; 4-byte Folded Reload
	buffer_load_dword v1, off, s[36:39], 0 offset:252 ; 4-byte Folded Reload
	;; [unrolled: 1-line block ×4, first 2 shown]
	v_ldexp_f64 v[44:45], -v[2:3], -2
	v_add_f64 v[2:3], v[32:33], v[60:61]
	v_add_f64 v[2:3], v[62:63], v[2:3]
	s_waitcnt vmcnt(0)
	v_add_f64 v[20:21], v[0:1], v[4:5]
	v_add_f64 v[20:21], v[20:21], v[56:57]
	;; [unrolled: 1-line block ×3, first 2 shown]
	v_add_f64 v[2:3], v[2:3], -v[20:21]
	v_add_f64 v[20:21], v[6:7], v[8:9]
	v_add_f64 v[8:9], v[50:51], v[8:9]
	v_ldexp_f64 v[40:41], -v[2:3], -2
	v_mov_b32_e32 v2, v30
	v_mov_b32_e32 v3, v31
	v_add_f64 v[58:59], v[58:59], v[2:3]
	v_add_f64 v[20:21], v[20:21], v[18:19]
	;; [unrolled: 1-line block ×6, first 2 shown]
	v_add_f64 v[20:21], v[20:21], -v[58:59]
	v_ldexp_f64 v[30:31], v[20:21], -2
	v_add_f64 v[20:21], v[22:23], v[34:35]
	v_mov_b32_e32 v22, v34
	v_mov_b32_e32 v23, v35
	v_add_f64 v[34:35], v[12:13], v[4:5]
	v_add_f64 v[20:21], v[20:21], v[42:43]
	v_add_f64 v[34:35], v[34:35], v[54:55]
	v_add_f64 v[20:21], v[16:17], v[20:21]
	v_add_f64 v[34:35], v[62:63], v[34:35]
	v_add_f64 v[14:15], v[14:15], -v[20:21]
	v_add_f64 v[20:21], v[10:11], v[0:1]
	v_add_f64 v[10:11], v[36:37], v[28:29]
	v_ldexp_f64 v[58:59], v[14:15], -2
	v_add_f64 v[20:21], v[20:21], v[56:57]
	v_add_f64 v[10:11], v[10:11], v[22:23]
	;; [unrolled: 1-line block ×3, first 2 shown]
	v_add_f64 v[20:21], v[20:21], -v[34:35]
	v_ldexp_f64 v[14:15], v[20:21], -2
	v_add_f64 v[20:21], v[48:49], v[46:47]
	v_add_f64 v[20:21], v[20:21], v[18:19]
	v_add_f64 v[20:21], v[20:21], v[26:27]
	v_add_f64 v[8:9], v[20:21], -v[8:9]
	v_ldexp_f64 v[2:3], v[8:9], -2
	v_add_f64 v[8:9], v[16:17], v[38:39]
	buffer_store_dword v2, off, s[36:39], 0 offset:272 ; 4-byte Folded Spill
	s_nop 0
	buffer_store_dword v3, off, s[36:39], 0 offset:276 ; 4-byte Folded Spill
	v_add_f64 v[8:9], v[8:9], v[24:25]
	v_add_f64 v[8:9], v[8:9], v[42:43]
	v_add_f64 v[8:9], v[8:9], -v[10:11]
	v_add_f64 v[10:11], v[32:33], v[0:1]
	v_ldexp_f64 v[2:3], v[8:9], -2
	v_add_f64 v[8:9], v[62:63], v[60:61]
	v_add_f64 v[10:11], v[10:11], v[4:5]
	buffer_store_dword v2, off, s[36:39], 0 offset:64 ; 4-byte Folded Spill
	s_nop 0
	buffer_store_dword v3, off, s[36:39], 0 offset:68 ; 4-byte Folded Spill
	v_add_f64 v[8:9], v[8:9], v[56:57]
	v_mov_b32_e32 v4, v44
	v_mov_b32_e32 v5, v45
	v_add_f64 v[8:9], v[8:9], v[54:55]
	v_add_f64 v[8:9], v[8:9], -v[10:11]
	v_ldexp_f64 v[0:1], v[8:9], -2
	buffer_store_dword v0, off, s[36:39], 0 offset:72 ; 4-byte Folded Spill
	s_nop 0
	buffer_store_dword v1, off, s[36:39], 0 offset:76 ; 4-byte Folded Spill
	buffer_store_dword v14, off, s[36:39], 0 offset:216 ; 4-byte Folded Spill
	s_nop 0
	buffer_store_dword v15, off, s[36:39], 0 offset:220 ; 4-byte Folded Spill
	;; [unrolled: 3-line block ×6, first 2 shown]
	v_mov_b32_e32 v0, 0x100
	buffer_load_dword v28, off, s[36:39], 0 offset:208 ; 4-byte Folded Reload
	buffer_load_dword v29, off, s[36:39], 0 offset:212 ; 4-byte Folded Reload
	v_mul_f64 v[8:9], v[44:45], v[14:15]
	v_mul_f64 v[12:13], v[30:31], v[40:41]
	;; [unrolled: 1-line block ×3, first 2 shown]
	v_fma_f64 v[8:9], v[58:59], v[40:41], -v[8:9]
	buffer_load_dword v40, off, s[36:39], 0 offset:280 ; 4-byte Folded Reload
	buffer_load_dword v41, off, s[36:39], 0 offset:284 ; 4-byte Folded Reload
	v_fma_f64 v[12:13], v[52:53], v[14:15], -v[12:13]
	v_fma_f64 v[18:19], v[30:31], v[44:45], -v[18:19]
	v_mul_f64 v[20:21], v[12:13], v[12:13]
	v_fma_f64 v[20:21], v[8:9], v[8:9], v[20:21]
	v_fma_f64 v[20:21], v[18:19], v[18:19], v[20:21]
	v_add_f64 v[20:21], v[20:21], s[4:5]
	v_cmp_gt_f64_e32 vcc, s[6:7], v[20:21]
	v_cndmask_b32_e32 v22, 0, v0, vcc
	v_ldexp_f64 v[20:21], v[20:21], v22
	v_mov_b32_e32 v0, 0xffffff80
	v_rsq_f64_e32 v[22:23], v[20:21]
	v_mul_f64 v[24:25], v[20:21], v[22:23]
	v_mul_f64 v[22:23], v[22:23], 0.5
	v_fma_f64 v[26:27], -v[22:23], v[24:25], 0.5
	v_fma_f64 v[24:25], v[24:25], v[26:27], v[24:25]
	v_fma_f64 v[22:23], v[22:23], v[26:27], v[22:23]
	v_fma_f64 v[31:32], -v[24:25], v[24:25], v[20:21]
	v_fma_f64 v[24:25], v[31:32], v[22:23], v[24:25]
	v_fma_f64 v[26:27], -v[24:25], v[24:25], v[20:21]
	v_fma_f64 v[22:23], v[26:27], v[22:23], v[24:25]
	v_cndmask_b32_e32 v24, 0, v0, vcc
	v_mov_b32_e32 v0, 0x260
	v_cmp_class_f64_e32 vcc, v[20:21], v0
	v_ldexp_f64 v[22:23], v[22:23], v24
	v_cndmask_b32_e32 v21, v23, v21, vcc
	v_cndmask_b32_e32 v20, v22, v20, vcc
	s_waitcnt vmcnt(2)
	v_div_scale_f64 v[22:23], s[16:17], v[20:21], v[20:21], v[28:29]
	v_rcp_f64_e32 v[24:25], v[22:23]
	v_fma_f64 v[26:27], -v[22:23], v[24:25], 1.0
	v_fma_f64 v[24:25], v[24:25], v[26:27], v[24:25]
	v_fma_f64 v[26:27], -v[22:23], v[24:25], 1.0
	v_fma_f64 v[24:25], v[24:25], v[26:27], v[24:25]
	v_div_scale_f64 v[26:27], vcc, v[28:29], v[20:21], v[28:29]
	v_mul_f64 v[36:37], v[26:27], v[24:25]
	v_fma_f64 v[22:23], -v[22:23], v[36:37], v[26:27]
	s_nop 1
	v_div_fmas_f64 v[22:23], v[22:23], v[24:25], v[36:37]
	v_div_fixup_f64 v[20:21], v[22:23], v[20:21], v[28:29]
	s_waitcnt vmcnt(1)
	v_add_co_u32_e32 v22, vcc, s14, v40
	v_mov_b32_e32 v23, s15
	s_waitcnt vmcnt(0)
	v_addc_co_u32_e32 v23, vcc, v23, v41, vcc
	global_store_dwordx2 v[22:23], v[20:21], off
	buffer_load_dword v32, off, s[36:39], 0 offset:240 ; 4-byte Folded Reload
	buffer_load_dword v33, off, s[36:39], 0 offset:244 ; 4-byte Folded Reload
	s_waitcnt vmcnt(0)
	v_mul_f64 v[20:21], v[8:9], v[32:33]
	buffer_load_dword v0, off, s[36:39], 0 offset:24 ; 4-byte Folded Reload
	buffer_load_dword v1, off, s[36:39], 0 offset:28 ; 4-byte Folded Reload
	;; [unrolled: 1-line block ×4, first 2 shown]
	v_mul_f64 v[24:25], v[12:13], v[32:33]
	v_mul_f64 v[22:23], v[18:19], v[32:33]
	s_waitcnt vmcnt(0)
	v_add_f64 v[8:9], v[0:1], v[8:9]
	buffer_load_dword v0, off, s[36:39], 0 offset:200 ; 4-byte Folded Reload
	buffer_load_dword v1, off, s[36:39], 0 offset:204 ; 4-byte Folded Reload
	;; [unrolled: 1-line block ×4, first 2 shown]
	s_waitcnt vmcnt(2)
	v_add_f64 v[8:9], v[8:9], v[0:1]
	s_waitcnt vmcnt(0)
	v_add_f64 v[12:13], v[8:9], v[10:11]
	buffer_load_dword v8, off, s[36:39], 0  ; 4-byte Folded Reload
	buffer_load_dword v9, off, s[36:39], 0 offset:4 ; 4-byte Folded Reload
	buffer_load_dword v10, off, s[36:39], 0 offset:48 ; 4-byte Folded Reload
	;; [unrolled: 1-line block ×3, first 2 shown]
	s_waitcnt vmcnt(0)
	v_add_f64 v[2:3], v[10:11], v[8:9]
	buffer_store_dword v2, off, s[36:39], 0 offset:248 ; 4-byte Folded Spill
	s_nop 0
	buffer_store_dword v3, off, s[36:39], 0 offset:252 ; 4-byte Folded Spill
	buffer_load_dword v8, off, s[36:39], 0 offset:8 ; 4-byte Folded Reload
	buffer_load_dword v9, off, s[36:39], 0 offset:12 ; 4-byte Folded Reload
	s_waitcnt vmcnt(0)
	v_add_f64 v[18:19], v[2:3], v[8:9]
	buffer_load_dword v8, off, s[36:39], 0 offset:16 ; 4-byte Folded Reload
	buffer_load_dword v9, off, s[36:39], 0 offset:20 ; 4-byte Folded Reload
	;; [unrolled: 1-line block ×14, first 2 shown]
	s_waitcnt vmcnt(12)
	v_add_f64 v[18:19], v[18:19], v[8:9]
	s_waitcnt vmcnt(0)
	v_add_f64 v[2:3], v[6:7], v[58:59]
	buffer_store_dword v2, off, s[36:39], 0 offset:256 ; 4-byte Folded Spill
	s_nop 0
	buffer_store_dword v3, off, s[36:39], 0 offset:260 ; 4-byte Folded Spill
	buffer_load_dword v60, off, s[36:39], 0 offset:152 ; 4-byte Folded Reload
	buffer_load_dword v61, off, s[36:39], 0 offset:156 ; 4-byte Folded Reload
	;; [unrolled: 1-line block ×16, first 2 shown]
	v_add_f64 v[12:13], v[12:13], -v[18:19]
	v_ldexp_f64 v[26:27], v[12:13], -2
	v_add_f64 v[12:13], v[34:35], v[38:39]
	v_add_f64 v[12:13], v[12:13], v[56:57]
	;; [unrolled: 1-line block ×3, first 2 shown]
	s_waitcnt vmcnt(14)
	v_add_f64 v[36:37], v[2:3], v[60:61]
	s_waitcnt vmcnt(0)
	v_add_f64 v[2:3], v[16:17], v[14:15]
	buffer_store_dword v2, off, s[36:39], 0 offset:264 ; 4-byte Folded Spill
	s_nop 0
	buffer_store_dword v3, off, s[36:39], 0 offset:268 ; 4-byte Folded Spill
	buffer_load_dword v50, off, s[36:39], 0 offset:96 ; 4-byte Folded Reload
	buffer_load_dword v51, off, s[36:39], 0 offset:100 ; 4-byte Folded Reload
	;; [unrolled: 1-line block ×4, first 2 shown]
	v_add_f64 v[36:37], v[36:37], v[30:31]
	v_add_f64 v[18:19], v[18:19], -v[36:37]
	v_ldexp_f64 v[36:37], v[18:19], -2
	v_add_f64 v[18:19], v[62:63], v[8:9]
	v_mul_f64 v[24:25], v[36:37], v[24:25]
	v_add_f64 v[18:19], v[18:19], v[48:49]
	v_fma_f64 v[20:21], v[26:27], v[20:21], v[24:25]
	v_add_f64 v[42:43], v[18:19], v[46:47]
	s_waitcnt vmcnt(2)
	v_add_f64 v[44:45], v[2:3], v[50:51]
	s_waitcnt vmcnt(0)
	v_add_f64 v[44:45], v[44:45], v[52:53]
	v_add_f64 v[42:43], v[42:43], -v[44:45]
	v_mov_b32_e32 v45, v1
	v_mov_b32_e32 v44, v0
	v_ldexp_f64 v[42:43], v[42:43], -2
	v_fma_f64 v[20:21], v[42:43], v[22:23], v[20:21]
	v_add_co_u32_e32 v22, vcc, s12, v40
	v_mov_b32_e32 v23, s13
	v_addc_co_u32_e32 v23, vcc, v23, v41, vcc
	global_store_dwordx2 v[22:23], v[20:21], off
	buffer_load_dword v6, off, s[36:39], 0 offset:64 ; 4-byte Folded Reload
	buffer_load_dword v7, off, s[36:39], 0 offset:68 ; 4-byte Folded Reload
	;; [unrolled: 1-line block ×8, first 2 shown]
	s_waitcnt vmcnt(4)
	v_mul_f64 v[20:21], v[6:7], v[2:3]
	s_waitcnt vmcnt(0)
	v_mul_f64 v[22:23], v[12:13], v[10:11]
	v_fma_f64 v[20:21], v[4:5], v[10:11], -v[20:21]
	buffer_load_dword v10, off, s[36:39], 0 offset:272 ; 4-byte Folded Reload
	buffer_load_dword v11, off, s[36:39], 0 offset:276 ; 4-byte Folded Reload
	s_waitcnt vmcnt(0)
	v_fma_f64 v[2:3], v[10:11], v[2:3], -v[22:23]
	v_mul_f64 v[4:5], v[10:11], v[4:5]
	v_fma_f64 v[4:5], v[12:13], v[6:7], -v[4:5]
	v_mul_f64 v[6:7], v[2:3], v[2:3]
	v_mov_b32_e32 v12, 0x100
	v_mul_f64 v[2:3], v[2:3], v[32:33]
	v_fma_f64 v[6:7], v[20:21], v[20:21], v[6:7]
	v_fma_f64 v[6:7], v[4:5], v[4:5], v[6:7]
	v_mul_f64 v[4:5], v[4:5], v[32:33]
	v_add_f64 v[6:7], v[6:7], s[4:5]
	v_cmp_gt_f64_e32 vcc, s[6:7], v[6:7]
	v_cndmask_b32_e32 v22, 0, v12, vcc
	v_ldexp_f64 v[6:7], v[6:7], v22
	v_mov_b32_e32 v12, 0xffffff80
	v_rsq_f64_e32 v[22:23], v[6:7]
	v_mul_f64 v[24:25], v[6:7], v[22:23]
	v_mul_f64 v[22:23], v[22:23], 0.5
	v_fma_f64 v[26:27], -v[22:23], v[24:25], 0.5
	v_fma_f64 v[24:25], v[24:25], v[26:27], v[24:25]
	v_fma_f64 v[22:23], v[22:23], v[26:27], v[22:23]
	v_fma_f64 v[36:37], -v[24:25], v[24:25], v[6:7]
	v_fma_f64 v[24:25], v[36:37], v[22:23], v[24:25]
	v_fma_f64 v[26:27], -v[24:25], v[24:25], v[6:7]
	v_fma_f64 v[22:23], v[26:27], v[22:23], v[24:25]
	v_cndmask_b32_e32 v24, 0, v12, vcc
	v_mov_b32_e32 v12, 0x260
	v_cmp_class_f64_e32 vcc, v[6:7], v12
	v_ldexp_f64 v[22:23], v[22:23], v24
	v_cndmask_b32_e32 v7, v23, v7, vcc
	v_cndmask_b32_e32 v6, v22, v6, vcc
	v_div_scale_f64 v[22:23], s[12:13], v[6:7], v[6:7], v[28:29]
	v_rcp_f64_e32 v[24:25], v[22:23]
	v_fma_f64 v[26:27], -v[22:23], v[24:25], 1.0
	v_fma_f64 v[24:25], v[24:25], v[26:27], v[24:25]
	v_fma_f64 v[26:27], -v[22:23], v[24:25], 1.0
	v_fma_f64 v[24:25], v[24:25], v[26:27], v[24:25]
	v_div_scale_f64 v[26:27], vcc, v[28:29], v[6:7], v[28:29]
	v_mul_f64 v[36:37], v[26:27], v[24:25]
	v_fma_f64 v[22:23], -v[22:23], v[36:37], v[26:27]
	v_add_f64 v[26:27], v[16:17], v[52:53]
	s_nop 0
	v_div_fmas_f64 v[22:23], v[22:23], v[24:25], v[36:37]
	v_add_f64 v[26:27], v[26:27], v[46:47]
	v_add_f64 v[26:27], v[62:63], v[26:27]
	v_div_fixup_f64 v[6:7], v[22:23], v[6:7], v[28:29]
	v_add_co_u32_e32 v22, vcc, s2, v40
	v_mov_b32_e32 v23, s3
	v_addc_co_u32_e32 v23, vcc, v23, v41, vcc
	global_store_dwordx2 v[22:23], v[6:7], off
	buffer_load_dword v18, off, s[36:39], 0 offset:8 ; 4-byte Folded Reload
	buffer_load_dword v19, off, s[36:39], 0 offset:12 ; 4-byte Folded Reload
	buffer_load_dword v12, off, s[36:39], 0 ; 4-byte Folded Reload
	buffer_load_dword v13, off, s[36:39], 0 offset:4 ; 4-byte Folded Reload
	v_mul_f64 v[6:7], v[20:21], v[32:33]
	s_waitcnt vmcnt(0)
	v_add_f64 v[20:21], v[12:13], v[18:19]
	v_add_f64 v[20:21], v[20:21], v[0:1]
	buffer_load_dword v0, off, s[36:39], 0 offset:32 ; 4-byte Folded Reload
	buffer_load_dword v1, off, s[36:39], 0 offset:36 ; 4-byte Folded Reload
	;; [unrolled: 1-line block ×6, first 2 shown]
	s_waitcnt vmcnt(4)
	v_add_f64 v[20:21], v[0:1], v[20:21]
	s_waitcnt vmcnt(0)
	v_add_f64 v[22:23], v[12:13], v[36:37]
	buffer_load_dword v12, off, s[36:39], 0 offset:40 ; 4-byte Folded Reload
	buffer_load_dword v13, off, s[36:39], 0 offset:44 ; 4-byte Folded Reload
	;; [unrolled: 1-line block ×6, first 2 shown]
	s_waitcnt vmcnt(4)
	v_add_f64 v[22:23], v[22:23], v[12:13]
	s_waitcnt vmcnt(0)
	v_add_f64 v[24:25], v[24:25], v[30:31]
	v_add_f64 v[22:23], v[42:43], v[22:23]
	v_add_f64 v[24:25], v[24:25], v[54:55]
	v_add_f64 v[20:21], v[20:21], -v[22:23]
	v_add_f64 v[22:23], v[58:59], v[60:61]
	v_add_f64 v[24:25], v[34:35], v[24:25]
	v_mov_b32_e32 v59, v49
	v_mov_b32_e32 v58, v48
	v_ldexp_f64 v[20:21], v[20:21], -2
	v_add_f64 v[22:23], v[22:23], v[56:57]
	v_add_f64 v[22:23], v[38:39], v[22:23]
	v_add_f64 v[22:23], v[22:23], -v[24:25]
	v_add_f64 v[24:25], v[14:15], v[50:51]
	v_ldexp_f64 v[22:23], v[22:23], -2
	v_add_f64 v[24:25], v[24:25], v[48:49]
	v_mov_b32_e32 v49, v9
	v_mov_b32_e32 v48, v8
	v_mul_f64 v[2:3], v[22:23], v[2:3]
	v_add_f64 v[24:25], v[8:9], v[24:25]
	v_fma_f64 v[2:3], v[20:21], v[6:7], v[2:3]
	v_add_f64 v[24:25], v[24:25], -v[26:27]
	v_ldexp_f64 v[24:25], v[24:25], -2
	v_fma_f64 v[2:3], v[24:25], v[4:5], v[2:3]
	v_add_co_u32_e32 v4, vcc, s0, v40
	v_mov_b32_e32 v5, s1
	v_addc_co_u32_e32 v5, vcc, v5, v41, vcc
	global_store_dwordx2 v[4:5], v[2:3], off
	buffer_load_dword v6, off, s[36:39], 0 offset:72 ; 4-byte Folded Reload
	buffer_load_dword v7, off, s[36:39], 0 offset:76 ; 4-byte Folded Reload
	;; [unrolled: 1-line block ×10, first 2 shown]
	s_waitcnt vmcnt(6)
	v_mul_f64 v[2:3], v[14:15], v[6:7]
	s_waitcnt vmcnt(2)
	v_fma_f64 v[2:3], v[8:9], v[4:5], -v[2:3]
	v_mul_f64 v[4:5], v[10:11], v[4:5]
	s_waitcnt vmcnt(0)
	v_fma_f64 v[6:7], v[16:17], v[6:7], -v[4:5]
	v_mul_f64 v[4:5], v[16:17], v[8:9]
	v_mov_b32_e32 v8, 0x100
	v_fma_f64 v[14:15], v[10:11], v[14:15], -v[4:5]
	v_mul_f64 v[4:5], v[6:7], v[6:7]
	v_fma_f64 v[4:5], v[2:3], v[2:3], v[4:5]
	v_fma_f64 v[4:5], v[14:15], v[14:15], v[4:5]
	v_add_f64 v[4:5], v[4:5], s[4:5]
	v_cmp_gt_f64_e32 vcc, s[6:7], v[4:5]
	v_cndmask_b32_e32 v10, 0, v8, vcc
	v_ldexp_f64 v[4:5], v[4:5], v10
	v_mov_b32_e32 v8, 0xffffff80
	v_rsq_f64_e32 v[10:11], v[4:5]
	v_mul_f64 v[16:17], v[4:5], v[10:11]
	v_mul_f64 v[10:11], v[10:11], 0.5
	v_fma_f64 v[20:21], -v[10:11], v[16:17], 0.5
	v_fma_f64 v[16:17], v[16:17], v[20:21], v[16:17]
	v_fma_f64 v[10:11], v[10:11], v[20:21], v[10:11]
	v_fma_f64 v[22:23], -v[16:17], v[16:17], v[4:5]
	v_fma_f64 v[16:17], v[22:23], v[10:11], v[16:17]
	v_fma_f64 v[20:21], -v[16:17], v[16:17], v[4:5]
	v_fma_f64 v[10:11], v[20:21], v[10:11], v[16:17]
	v_cndmask_b32_e32 v16, 0, v8, vcc
	v_mov_b32_e32 v8, 0x260
	v_cmp_class_f64_e32 vcc, v[4:5], v8
	v_add_f64 v[8:9], v[18:19], v[36:37]
	v_ldexp_f64 v[10:11], v[10:11], v16
	v_add_f64 v[8:9], v[8:9], v[44:45]
	v_cndmask_b32_e32 v5, v11, v5, vcc
	v_cndmask_b32_e32 v4, v10, v4, vcc
	v_div_scale_f64 v[10:11], s[0:1], v[4:5], v[4:5], v[28:29]
	v_add_f64 v[8:9], v[8:9], v[12:13]
	v_add_f64 v[12:13], v[60:61], v[30:31]
	;; [unrolled: 1-line block ×3, first 2 shown]
	v_rcp_f64_e32 v[16:17], v[10:11]
	v_add_f64 v[12:13], v[12:13], v[54:55]
	v_fma_f64 v[20:21], -v[10:11], v[16:17], 1.0
	v_fma_f64 v[16:17], v[16:17], v[20:21], v[16:17]
	v_fma_f64 v[20:21], -v[10:11], v[16:17], 1.0
	v_fma_f64 v[16:17], v[16:17], v[20:21], v[16:17]
	v_div_scale_f64 v[20:21], vcc, v[28:29], v[4:5], v[28:29]
	v_mul_f64 v[22:23], v[20:21], v[16:17]
	v_fma_f64 v[10:11], -v[10:11], v[22:23], v[20:21]
	s_nop 1
	v_div_fmas_f64 v[10:11], v[10:11], v[16:17], v[22:23]
	v_div_fixup_f64 v[4:5], v[10:11], v[4:5], v[28:29]
	v_add_co_u32_e32 v10, vcc, s10, v40
	v_mov_b32_e32 v11, s11
	v_addc_co_u32_e32 v11, vcc, v11, v41, vcc
	global_store_dwordx2 v[10:11], v[4:5], off
	v_mul_f64 v[10:11], v[6:7], v[32:33]
	buffer_load_dword v6, off, s[36:39], 0 offset:248 ; 4-byte Folded Reload
	buffer_load_dword v7, off, s[36:39], 0 offset:252 ; 4-byte Folded Reload
	v_mul_f64 v[4:5], v[2:3], v[32:33]
	v_mul_f64 v[2:3], v[14:15], v[32:33]
	v_add_f64 v[14:15], v[50:51], v[52:53]
	v_add_f64 v[14:15], v[14:15], v[58:59]
	;; [unrolled: 1-line block ×3, first 2 shown]
	s_waitcnt vmcnt(0)
	v_add_f64 v[6:7], v[6:7], v[0:1]
	buffer_load_dword v0, off, s[36:39], 0 offset:256 ; 4-byte Folded Reload
	buffer_load_dword v1, off, s[36:39], 0 offset:260 ; 4-byte Folded Reload
	v_add_f64 v[6:7], v[42:43], v[6:7]
	v_add_f64 v[6:7], v[6:7], -v[8:9]
	v_ldexp_f64 v[6:7], -v[6:7], -2
	s_waitcnt vmcnt(0)
	v_add_f64 v[8:9], v[0:1], v[38:39]
	buffer_load_dword v0, off, s[36:39], 0 offset:264 ; 4-byte Folded Reload
	buffer_load_dword v1, off, s[36:39], 0 offset:268 ; 4-byte Folded Reload
	v_add_f64 v[8:9], v[34:35], v[8:9]
	v_add_f64 v[8:9], v[8:9], -v[12:13]
	v_ldexp_f64 v[8:9], -v[8:9], -2
	v_mul_f64 v[8:9], v[8:9], v[10:11]
	v_fma_f64 v[4:5], v[6:7], v[4:5], v[8:9]
	s_waitcnt vmcnt(0)
	v_add_f64 v[12:13], v[0:1], v[48:49]
	v_add_co_u32_e32 v0, vcc, s8, v40
	v_add_f64 v[12:13], v[62:63], v[12:13]
	v_add_f64 v[12:13], v[12:13], -v[14:15]
	v_ldexp_f64 v[12:13], -v[12:13], -2
	v_fma_f64 v[2:3], v[12:13], v[2:3], v[4:5]
	v_mov_b32_e32 v4, s9
	v_addc_co_u32_e32 v1, vcc, v4, v41, vcc
	global_store_dwordx2 v[0:1], v[2:3], off
.LBB12_2:
	s_endpgm
	.section	.rodata,"a",@progbits
	.p2align	6, 0x0
	.amdhsa_kernel _Z31calcMonotonicQGradientsForElemsPKdS0_S0_S0_S0_S0_PKiS0_PdS3_S3_S3_S3_S3_S0_i
		.amdhsa_group_segment_fixed_size 0
		.amdhsa_private_segment_fixed_size 308
		.amdhsa_kernarg_size 384
		.amdhsa_user_sgpr_count 6
		.amdhsa_user_sgpr_private_segment_buffer 1
		.amdhsa_user_sgpr_dispatch_ptr 0
		.amdhsa_user_sgpr_queue_ptr 0
		.amdhsa_user_sgpr_kernarg_segment_ptr 1
		.amdhsa_user_sgpr_dispatch_id 0
		.amdhsa_user_sgpr_flat_scratch_init 0
		.amdhsa_user_sgpr_private_segment_size 0
		.amdhsa_uses_dynamic_stack 0
		.amdhsa_system_sgpr_private_segment_wavefront_offset 1
		.amdhsa_system_sgpr_workgroup_id_x 1
		.amdhsa_system_sgpr_workgroup_id_y 0
		.amdhsa_system_sgpr_workgroup_id_z 0
		.amdhsa_system_sgpr_workgroup_info 0
		.amdhsa_system_vgpr_workitem_id 0
		.amdhsa_next_free_vgpr 64
		.amdhsa_next_free_sgpr 40
		.amdhsa_reserve_vcc 1
		.amdhsa_reserve_flat_scratch 0
		.amdhsa_float_round_mode_32 0
		.amdhsa_float_round_mode_16_64 0
		.amdhsa_float_denorm_mode_32 3
		.amdhsa_float_denorm_mode_16_64 3
		.amdhsa_dx10_clamp 1
		.amdhsa_ieee_mode 1
		.amdhsa_fp16_overflow 0
		.amdhsa_exception_fp_ieee_invalid_op 0
		.amdhsa_exception_fp_denorm_src 0
		.amdhsa_exception_fp_ieee_div_zero 0
		.amdhsa_exception_fp_ieee_overflow 0
		.amdhsa_exception_fp_ieee_underflow 0
		.amdhsa_exception_fp_ieee_inexact 0
		.amdhsa_exception_int_div_zero 0
	.end_amdhsa_kernel
	.text
.Lfunc_end12:
	.size	_Z31calcMonotonicQGradientsForElemsPKdS0_S0_S0_S0_S0_PKiS0_PdS3_S3_S3_S3_S3_S0_i, .Lfunc_end12-_Z31calcMonotonicQGradientsForElemsPKdS0_S0_S0_S0_S0_PKiS0_PdS3_S3_S3_S3_S3_S0_i
                                        ; -- End function
	.set _Z31calcMonotonicQGradientsForElemsPKdS0_S0_S0_S0_S0_PKiS0_PdS3_S3_S3_S3_S3_S0_i.num_vgpr, 64
	.set _Z31calcMonotonicQGradientsForElemsPKdS0_S0_S0_S0_S0_PKiS0_PdS3_S3_S3_S3_S3_S0_i.num_agpr, 0
	.set _Z31calcMonotonicQGradientsForElemsPKdS0_S0_S0_S0_S0_PKiS0_PdS3_S3_S3_S3_S3_S0_i.numbered_sgpr, 40
	.set _Z31calcMonotonicQGradientsForElemsPKdS0_S0_S0_S0_S0_PKiS0_PdS3_S3_S3_S3_S3_S0_i.num_named_barrier, 0
	.set _Z31calcMonotonicQGradientsForElemsPKdS0_S0_S0_S0_S0_PKiS0_PdS3_S3_S3_S3_S3_S0_i.private_seg_size, 308
	.set _Z31calcMonotonicQGradientsForElemsPKdS0_S0_S0_S0_S0_PKiS0_PdS3_S3_S3_S3_S3_S0_i.uses_vcc, 1
	.set _Z31calcMonotonicQGradientsForElemsPKdS0_S0_S0_S0_S0_PKiS0_PdS3_S3_S3_S3_S3_S0_i.uses_flat_scratch, 0
	.set _Z31calcMonotonicQGradientsForElemsPKdS0_S0_S0_S0_S0_PKiS0_PdS3_S3_S3_S3_S3_S0_i.has_dyn_sized_stack, 0
	.set _Z31calcMonotonicQGradientsForElemsPKdS0_S0_S0_S0_S0_PKiS0_PdS3_S3_S3_S3_S3_S0_i.has_recursion, 0
	.set _Z31calcMonotonicQGradientsForElemsPKdS0_S0_S0_S0_S0_PKiS0_PdS3_S3_S3_S3_S3_S0_i.has_indirect_call, 0
	.section	.AMDGPU.csdata,"",@progbits
; Kernel info:
; codeLenInByte = 5844
; TotalNumSgprs: 44
; NumVgprs: 64
; ScratchSize: 308
; MemoryBound: 0
; FloatMode: 240
; IeeeMode: 1
; LDSByteSize: 0 bytes/workgroup (compile time only)
; SGPRBlocks: 5
; VGPRBlocks: 15
; NumSGPRsForWavesPerEU: 44
; NumVGPRsForWavesPerEU: 64
; Occupancy: 4
; WaveLimiterHint : 1
; COMPUTE_PGM_RSRC2:SCRATCH_EN: 1
; COMPUTE_PGM_RSRC2:USER_SGPR: 6
; COMPUTE_PGM_RSRC2:TRAP_HANDLER: 0
; COMPUTE_PGM_RSRC2:TGID_X_EN: 1
; COMPUTE_PGM_RSRC2:TGID_Y_EN: 0
; COMPUTE_PGM_RSRC2:TGID_Z_EN: 0
; COMPUTE_PGM_RSRC2:TIDIG_COMP_CNT: 0
	.text
	.protected	_Z22calcMonotonicQForElemsPKiPKdPdS3_S2_S2_S2_S2_S2_S2_S2_S2_S0_S0_S0_S0_S0_S0_S2_ddddi ; -- Begin function _Z22calcMonotonicQForElemsPKiPKdPdS3_S2_S2_S2_S2_S2_S2_S2_S2_S0_S0_S0_S0_S0_S0_S2_ddddi
	.globl	_Z22calcMonotonicQForElemsPKiPKdPdS3_S2_S2_S2_S2_S2_S2_S2_S2_S0_S0_S0_S0_S0_S0_S2_ddddi
	.p2align	8
	.type	_Z22calcMonotonicQForElemsPKiPKdPdS3_S2_S2_S2_S2_S2_S2_S2_S2_S0_S0_S0_S0_S0_S0_S2_ddddi,@function
_Z22calcMonotonicQForElemsPKiPKdPdS3_S2_S2_S2_S2_S2_S2_S2_S2_S0_S0_S0_S0_S0_S0_S2_ddddi: ; @_Z22calcMonotonicQForElemsPKiPKdPdS3_S2_S2_S2_S2_S2_S2_S2_S2_S0_S0_S0_S0_S0_S0_S2_ddddi
; %bb.0:
	s_load_dword s0, s[4:5], 0xcc
	s_load_dword s1, s[4:5], 0xb8
	s_waitcnt lgkmcnt(0)
	s_and_b32 s0, s0, 0xffff
	s_mul_i32 s6, s6, s0
	v_add_u32_e32 v0, s6, v0
	v_cmp_gt_i32_e32 vcc, s1, v0
	s_and_saveexec_b64 s[0:1], vcc
	s_cbranch_execz .LBB13_64
; %bb.1:
	s_load_dwordx2 s[6:7], s[4:5], 0x90
	s_load_dwordx4 s[0:3], s[4:5], 0x80
	s_load_dwordx8 s[36:43], s[4:5], 0x60
	s_load_dwordx8 s[16:23], s[4:5], 0x40
	;; [unrolled: 1-line block ×4, first 2 shown]
	v_ashrrev_i32_e32 v1, 31, v0
	v_lshlrev_b64 v[12:13], 2, v[0:1]
	v_lshlrev_b64 v[0:1], 3, v[0:1]
	s_waitcnt lgkmcnt(0)
	v_mov_b32_e32 v3, s9
	v_add_co_u32_e32 v2, vcc, s8, v12
	v_addc_co_u32_e32 v3, vcc, v3, v13, vcc
	global_load_dword v20, v[2:3], off
	v_mov_b32_e32 v3, s21
	v_add_co_u32_e32 v2, vcc, s20, v0
	v_addc_co_u32_e32 v3, vcc, v3, v1, vcc
	global_load_dwordx2 v[2:3], v[2:3], off
	s_mov_b64 s[34:35], -1
                                        ; implicit-def: $vgpr4_vgpr5
	s_waitcnt vmcnt(1)
	v_and_b32_e32 v6, 7, v20
	v_cmp_lt_i32_e32 vcc, 0, v6
	s_and_saveexec_b64 s[8:9], vcc
	s_cbranch_execz .LBB13_9
; %bb.2:
	v_cmp_lt_i32_e32 vcc, 3, v6
	s_mov_b64 s[44:45], 0
	s_mov_b64 s[34:35], 0
	s_and_saveexec_b64 s[46:47], vcc
	s_xor_b64 s[46:47], exec, s[46:47]
; %bb.3:
	v_cmp_ne_u32_e32 vcc, 4, v6
	s_mov_b64 s[34:35], exec
	s_and_b64 s[44:45], vcc, exec
                                        ; implicit-def: $vgpr6
; %bb.4:
	s_andn2_saveexec_b64 s[46:47], s[46:47]
; %bb.5:
	v_cmp_ne_u32_e32 vcc, 1, v6
	s_andn2_b64 s[44:45], s[44:45], exec
	s_and_b64 s[48:49], vcc, exec
	s_or_b64 s[44:45], s[44:45], s[48:49]
; %bb.6:
	s_or_b64 exec, exec, s[46:47]
	s_waitcnt vmcnt(0)
	v_mov_b32_e32 v5, v3
	v_mov_b32_e32 v4, v2
	s_and_saveexec_b64 s[46:47], s[44:45]
	s_xor_b64 s[44:45], exec, s[46:47]
; %bb.7:
	v_mov_b32_e32 v4, 0
	v_mov_b32_e32 v5, 0
	s_andn2_b64 s[34:35], s[34:35], exec
; %bb.8:
	s_or_b64 exec, exec, s[44:45]
	s_orn2_b64 s[34:35], s[34:35], exec
.LBB13_9:
	s_or_b64 exec, exec, s[8:9]
	s_and_saveexec_b64 s[8:9], s[34:35]
	s_cbranch_execz .LBB13_11
; %bb.10:
	v_mov_b32_e32 v5, s37
	v_add_co_u32_e32 v4, vcc, s36, v12
	v_addc_co_u32_e32 v5, vcc, v5, v13, vcc
	global_load_dword v4, v[4:5], off
	v_mov_b32_e32 v6, s21
	s_waitcnt vmcnt(0)
	v_ashrrev_i32_e32 v5, 31, v4
	v_lshlrev_b64 v[4:5], 3, v[4:5]
	v_add_co_u32_e32 v4, vcc, s20, v4
	v_addc_co_u32_e32 v5, vcc, v6, v5, vcc
	global_load_dwordx2 v[4:5], v[4:5], off
.LBB13_11:
	s_or_b64 exec, exec, s[8:9]
	v_bfe_u32 v8, v20, 3, 3
	v_cmp_lt_i32_e32 vcc, 0, v8
	s_mov_b64 s[34:35], -1
                                        ; implicit-def: $vgpr6_vgpr7
	s_and_saveexec_b64 s[8:9], vcc
	s_cbranch_execz .LBB13_19
; %bb.12:
	v_cmp_lt_i32_e32 vcc, 3, v8
	s_mov_b64 s[34:35], 0
	s_and_saveexec_b64 s[36:37], vcc
	s_xor_b64 s[36:37], exec, s[36:37]
; %bb.13:
	v_cmp_eq_u32_e32 vcc, 4, v8
	s_and_b64 s[34:35], vcc, exec
                                        ; implicit-def: $vgpr8
; %bb.14:
	s_or_saveexec_b64 s[36:37], s[36:37]
	v_mov_b32_e32 v6, 0
	v_mov_b32_e32 v7, 0
	s_xor_b64 exec, exec, s[36:37]
	s_cbranch_execz .LBB13_18
; %bb.15:
	v_mov_b32_e32 v6, 0
	v_mov_b32_e32 v7, 0
	v_cmp_eq_u32_e32 vcc, 1, v8
	s_and_saveexec_b64 s[44:45], vcc
	s_cbranch_execz .LBB13_17
; %bb.16:
	s_waitcnt vmcnt(0)
	v_mov_b32_e32 v7, v3
	v_mov_b32_e32 v6, v2
.LBB13_17:
	s_or_b64 exec, exec, s[44:45]
.LBB13_18:
	s_or_b64 exec, exec, s[36:37]
	s_orn2_b64 s[34:35], s[34:35], exec
.LBB13_19:
	s_or_b64 exec, exec, s[8:9]
	s_and_saveexec_b64 s[8:9], s[34:35]
	s_cbranch_execz .LBB13_21
; %bb.20:
	v_mov_b32_e32 v7, s39
	v_add_co_u32_e32 v6, vcc, s38, v12
	v_addc_co_u32_e32 v7, vcc, v7, v13, vcc
	global_load_dword v6, v[6:7], off
	v_mov_b32_e32 v8, s21
	s_waitcnt vmcnt(0)
	v_ashrrev_i32_e32 v7, 31, v6
	v_lshlrev_b64 v[6:7], 3, v[6:7]
	v_add_co_u32_e32 v6, vcc, s20, v6
	v_addc_co_u32_e32 v7, vcc, v8, v7, vcc
	global_load_dwordx2 v[6:7], v[6:7], off
.LBB13_21:
	s_or_b64 exec, exec, s[8:9]
	v_mov_b32_e32 v9, s29
	v_add_co_u32_e32 v8, vcc, s28, v0
	v_addc_co_u32_e32 v9, vcc, v9, v1, vcc
	global_load_dwordx2 v[8:9], v[8:9], off
	v_bfe_u32 v14, v20, 6, 3
	v_cmp_lt_i32_e32 vcc, 0, v14
	s_mov_b64 s[20:21], -1
                                        ; implicit-def: $vgpr10_vgpr11
	s_and_saveexec_b64 s[8:9], vcc
	s_cbranch_execz .LBB13_29
; %bb.22:
	v_cmp_lt_i32_e32 vcc, 3, v14
	s_mov_b64 s[34:35], 0
	s_mov_b64 s[20:21], 0
	s_and_saveexec_b64 s[36:37], vcc
	s_xor_b64 s[36:37], exec, s[36:37]
; %bb.23:
	v_cmp_ne_u32_e32 vcc, 4, v14
	s_mov_b64 s[20:21], exec
	s_and_b64 s[34:35], vcc, exec
                                        ; implicit-def: $vgpr14
; %bb.24:
	s_andn2_saveexec_b64 s[36:37], s[36:37]
; %bb.25:
	v_cmp_ne_u32_e32 vcc, 1, v14
	s_andn2_b64 s[34:35], s[34:35], exec
	s_and_b64 s[38:39], vcc, exec
	s_or_b64 s[34:35], s[34:35], s[38:39]
; %bb.26:
	s_or_b64 exec, exec, s[36:37]
	s_waitcnt vmcnt(0)
	v_mov_b32_e32 v11, v9
	v_mov_b32_e32 v10, v8
	s_and_saveexec_b64 s[36:37], s[34:35]
	s_xor_b64 s[34:35], exec, s[36:37]
; %bb.27:
	v_mov_b32_e32 v10, 0
	v_mov_b32_e32 v11, 0
	s_andn2_b64 s[20:21], s[20:21], exec
; %bb.28:
	s_or_b64 exec, exec, s[34:35]
	s_orn2_b64 s[20:21], s[20:21], exec
.LBB13_29:
	s_or_b64 exec, exec, s[8:9]
	s_and_saveexec_b64 s[8:9], s[20:21]
	s_cbranch_execz .LBB13_31
; %bb.30:
	v_mov_b32_e32 v11, s3
	v_add_co_u32_e32 v10, vcc, s2, v12
	v_addc_co_u32_e32 v11, vcc, v11, v13, vcc
	global_load_dword v10, v[10:11], off
	v_mov_b32_e32 v14, s29
	s_waitcnt vmcnt(0)
	v_ashrrev_i32_e32 v11, 31, v10
	v_lshlrev_b64 v[10:11], 3, v[10:11]
	v_add_co_u32_e32 v10, vcc, s28, v10
	v_addc_co_u32_e32 v11, vcc, v14, v11, vcc
	global_load_dwordx2 v[10:11], v[10:11], off
.LBB13_31:
	s_or_b64 exec, exec, s[8:9]
	v_bfe_u32 v16, v20, 9, 3
	v_cmp_lt_i32_e32 vcc, 0, v16
	s_mov_b64 s[8:9], -1
                                        ; implicit-def: $vgpr14_vgpr15
	s_and_saveexec_b64 s[2:3], vcc
	s_cbranch_execz .LBB13_39
; %bb.32:
	v_cmp_lt_i32_e32 vcc, 3, v16
	s_mov_b64 s[8:9], 0
	s_and_saveexec_b64 s[20:21], vcc
	s_xor_b64 s[20:21], exec, s[20:21]
; %bb.33:
	v_cmp_eq_u32_e32 vcc, 4, v16
	s_and_b64 s[8:9], vcc, exec
                                        ; implicit-def: $vgpr16
; %bb.34:
	s_or_saveexec_b64 s[20:21], s[20:21]
	v_mov_b32_e32 v14, 0
	v_mov_b32_e32 v15, 0
	s_xor_b64 exec, exec, s[20:21]
	s_cbranch_execz .LBB13_38
; %bb.35:
	v_mov_b32_e32 v14, 0
	v_mov_b32_e32 v15, 0
	v_cmp_eq_u32_e32 vcc, 1, v16
	s_and_saveexec_b64 s[34:35], vcc
	s_cbranch_execz .LBB13_37
; %bb.36:
	s_waitcnt vmcnt(0)
	v_mov_b32_e32 v15, v9
	v_mov_b32_e32 v14, v8
.LBB13_37:
	s_or_b64 exec, exec, s[34:35]
.LBB13_38:
	s_or_b64 exec, exec, s[20:21]
	s_orn2_b64 s[8:9], s[8:9], exec
.LBB13_39:
	s_or_b64 exec, exec, s[2:3]
	s_and_saveexec_b64 s[2:3], s[8:9]
	s_cbranch_execz .LBB13_41
; %bb.40:
	v_mov_b32_e32 v15, s1
	v_add_co_u32_e32 v14, vcc, s0, v12
	v_addc_co_u32_e32 v15, vcc, v15, v13, vcc
	global_load_dword v14, v[14:15], off
	v_mov_b32_e32 v16, s29
	s_waitcnt vmcnt(0)
	v_ashrrev_i32_e32 v15, 31, v14
	v_lshlrev_b64 v[14:15], 3, v[14:15]
	v_add_co_u32_e32 v14, vcc, s28, v14
	v_addc_co_u32_e32 v15, vcc, v16, v15, vcc
	global_load_dwordx2 v[14:15], v[14:15], off
.LBB13_41:
	s_or_b64 exec, exec, s[2:3]
	v_mov_b32_e32 v17, s17
	v_add_co_u32_e32 v16, vcc, s16, v0
	v_addc_co_u32_e32 v17, vcc, v17, v1, vcc
	global_load_dwordx2 v[16:17], v[16:17], off
	v_bfe_u32 v21, v20, 12, 3
	v_cmp_lt_i32_e32 vcc, 0, v21
	s_mov_b64 s[2:3], -1
                                        ; implicit-def: $vgpr18_vgpr19
	s_and_saveexec_b64 s[0:1], vcc
	s_cbranch_execz .LBB13_49
; %bb.42:
	v_cmp_lt_i32_e32 vcc, 3, v21
	s_mov_b64 s[8:9], 0
	s_mov_b64 s[2:3], 0
	s_and_saveexec_b64 s[20:21], vcc
	s_xor_b64 s[20:21], exec, s[20:21]
; %bb.43:
	v_cmp_ne_u32_e32 vcc, 4, v21
	s_mov_b64 s[2:3], exec
	s_and_b64 s[8:9], vcc, exec
                                        ; implicit-def: $vgpr21
; %bb.44:
	s_andn2_saveexec_b64 s[20:21], s[20:21]
; %bb.45:
	v_cmp_ne_u32_e32 vcc, 1, v21
	s_andn2_b64 s[8:9], s[8:9], exec
	s_and_b64 s[28:29], vcc, exec
	s_or_b64 s[8:9], s[8:9], s[28:29]
; %bb.46:
	s_or_b64 exec, exec, s[20:21]
	s_waitcnt vmcnt(0)
	v_mov_b32_e32 v19, v17
	v_mov_b32_e32 v18, v16
	s_and_saveexec_b64 s[20:21], s[8:9]
	s_xor_b64 s[8:9], exec, s[20:21]
; %bb.47:
	v_mov_b32_e32 v18, 0
	v_mov_b32_e32 v19, 0
	s_andn2_b64 s[2:3], s[2:3], exec
; %bb.48:
	s_or_b64 exec, exec, s[8:9]
	s_orn2_b64 s[2:3], s[2:3], exec
.LBB13_49:
	s_or_b64 exec, exec, s[0:1]
	s_and_saveexec_b64 s[0:1], s[2:3]
	s_cbranch_execz .LBB13_51
; %bb.50:
	v_mov_b32_e32 v19, s41
	v_add_co_u32_e32 v18, vcc, s40, v12
	v_addc_co_u32_e32 v19, vcc, v19, v13, vcc
	global_load_dword v18, v[18:19], off
	v_mov_b32_e32 v21, s17
	s_waitcnt vmcnt(0)
	v_ashrrev_i32_e32 v19, 31, v18
	v_lshlrev_b64 v[18:19], 3, v[18:19]
	v_add_co_u32_e32 v18, vcc, s16, v18
	v_addc_co_u32_e32 v19, vcc, v21, v19, vcc
	global_load_dwordx2 v[18:19], v[18:19], off
.LBB13_51:
	s_or_b64 exec, exec, s[0:1]
	v_bfe_u32 v22, v20, 15, 3
	v_cmp_lt_i32_e32 vcc, 0, v22
	s_mov_b64 s[2:3], -1
                                        ; implicit-def: $vgpr20_vgpr21
	s_and_saveexec_b64 s[0:1], vcc
	s_cbranch_execz .LBB13_59
; %bb.52:
	v_cmp_lt_i32_e32 vcc, 3, v22
	s_mov_b64 s[2:3], 0
	s_and_saveexec_b64 s[8:9], vcc
	s_xor_b64 s[8:9], exec, s[8:9]
; %bb.53:
	v_cmp_eq_u32_e32 vcc, 4, v22
	s_and_b64 s[2:3], vcc, exec
                                        ; implicit-def: $vgpr22
; %bb.54:
	s_or_saveexec_b64 s[8:9], s[8:9]
	v_mov_b32_e32 v20, 0
	v_mov_b32_e32 v21, 0
	s_xor_b64 exec, exec, s[8:9]
	s_cbranch_execz .LBB13_58
; %bb.55:
	v_mov_b32_e32 v20, 0
	v_mov_b32_e32 v21, 0
	v_cmp_eq_u32_e32 vcc, 1, v22
	s_and_saveexec_b64 s[20:21], vcc
	s_cbranch_execz .LBB13_57
; %bb.56:
	s_waitcnt vmcnt(0)
	v_mov_b32_e32 v21, v17
	v_mov_b32_e32 v20, v16
.LBB13_57:
	s_or_b64 exec, exec, s[20:21]
.LBB13_58:
	s_or_b64 exec, exec, s[8:9]
	s_orn2_b64 s[2:3], s[2:3], exec
.LBB13_59:
	s_or_b64 exec, exec, s[0:1]
	s_and_saveexec_b64 s[0:1], s[2:3]
	s_cbranch_execz .LBB13_61
; %bb.60:
	v_mov_b32_e32 v20, s43
	v_add_co_u32_e32 v12, vcc, s42, v12
	v_addc_co_u32_e32 v13, vcc, v20, v13, vcc
	global_load_dword v12, v[12:13], off
	v_mov_b32_e32 v20, s17
	s_waitcnt vmcnt(0)
	v_ashrrev_i32_e32 v13, 31, v12
	v_lshlrev_b64 v[12:13], 3, v[12:13]
	v_add_co_u32_e32 v12, vcc, s16, v12
	v_addc_co_u32_e32 v13, vcc, v20, v13, vcc
	global_load_dwordx2 v[20:21], v[12:13], off
.LBB13_61:
	s_or_b64 exec, exec, s[0:1]
	v_mov_b32_e32 v13, s25
	v_add_co_u32_e32 v12, vcc, s24, v0
	v_addc_co_u32_e32 v13, vcc, v13, v1, vcc
	global_load_dwordx2 v[12:13], v[12:13], off
	v_mov_b32_e32 v22, 0
	v_mov_b32_e32 v23, 0
	s_waitcnt vmcnt(0)
	v_cmp_nlt_f64_e32 vcc, 0, v[12:13]
	v_mov_b32_e32 v12, 0
	v_mov_b32_e32 v13, 0
	s_and_saveexec_b64 s[8:9], vcc
	s_cbranch_execz .LBB13_63
; %bb.62:
	s_mov_b32 s2, 0x932d2e72
	s_mov_b32 s3, 0x38754484
	v_add_f64 v[12:13], v[8:9], s[2:3]
	v_add_f64 v[22:23], v[16:17], s[2:3]
	v_div_scale_f64 v[24:25], s[0:1], v[12:13], v[12:13], 1.0
	v_div_scale_f64 v[26:27], s[0:1], v[22:23], v[22:23], 1.0
	v_rcp_f64_e32 v[28:29], v[24:25]
	v_rcp_f64_e32 v[30:31], v[26:27]
	v_fma_f64 v[32:33], -v[24:25], v[28:29], 1.0
	v_fma_f64 v[34:35], -v[26:27], v[30:31], 1.0
	v_fma_f64 v[28:29], v[28:29], v[32:33], v[28:29]
	v_fma_f64 v[30:31], v[30:31], v[34:35], v[30:31]
	v_div_scale_f64 v[34:35], vcc, 1.0, v[12:13], 1.0
	v_fma_f64 v[32:33], -v[24:25], v[28:29], 1.0
	v_fma_f64 v[28:29], v[28:29], v[32:33], v[28:29]
	v_fma_f64 v[32:33], -v[26:27], v[30:31], 1.0
	v_fma_f64 v[32:33], v[30:31], v[32:33], v[30:31]
	v_mul_f64 v[30:31], v[34:35], v[28:29]
	v_fma_f64 v[24:25], -v[24:25], v[30:31], v[34:35]
	v_div_scale_f64 v[34:35], s[0:1], 1.0, v[22:23], 1.0
	v_div_fmas_f64 v[30:31], v[24:25], v[28:29], v[30:31]
	v_add_f64 v[24:25], v[2:3], s[2:3]
	s_mov_b64 vcc, s[0:1]
	v_mul_f64 v[28:29], v[34:35], v[32:33]
	v_div_fixup_f64 v[12:13], v[30:31], v[12:13], 1.0
	v_fma_f64 v[26:27], -v[26:27], v[28:29], v[34:35]
	v_div_scale_f64 v[34:35], s[2:3], v[24:25], v[24:25], 1.0
	v_mov_b32_e32 v31, s19
	v_mul_f64 v[14:15], v[12:13], v[14:15]
	v_div_fmas_f64 v[28:29], v[26:27], v[32:33], v[28:29]
	v_rcp_f64_e32 v[26:27], v[34:35]
	v_div_fixup_f64 v[22:23], v[28:29], v[22:23], 1.0
	v_mul_f64 v[20:21], v[22:23], v[20:21]
	v_fma_f64 v[32:33], -v[34:35], v[26:27], 1.0
	v_fma_f64 v[26:27], v[26:27], v[32:33], v[26:27]
	v_fma_f64 v[32:33], -v[34:35], v[26:27], 1.0
	v_fma_f64 v[26:27], v[26:27], v[32:33], v[26:27]
	v_div_scale_f64 v[32:33], vcc, 1.0, v[24:25], 1.0
	v_mul_f64 v[36:37], v[32:33], v[26:27]
	v_fma_f64 v[32:33], -v[34:35], v[36:37], v[32:33]
	v_mov_b32_e32 v35, s7
	s_nop 0
	v_div_fmas_f64 v[26:27], v[32:33], v[26:27], v[36:37]
	v_mov_b32_e32 v33, s27
	v_add_co_u32_e32 v32, vcc, s26, v0
	v_addc_co_u32_e32 v33, vcc, v33, v1, vcc
	v_add_co_u32_e32 v34, vcc, s6, v0
	v_addc_co_u32_e32 v35, vcc, v35, v1, vcc
	global_load_dwordx2 v[32:33], v[32:33], off
	s_nop 0
	global_load_dwordx2 v[34:35], v[34:35], off
	v_mov_b32_e32 v36, s31
	v_div_fixup_f64 v[24:25], v[26:27], v[24:25], 1.0
	v_mul_f64 v[6:7], v[24:25], v[6:7]
	s_waitcnt vmcnt(0)
	v_mul_f64 v[32:33], v[32:33], v[34:35]
	v_mov_b32_e32 v35, s23
	v_add_co_u32_e32 v34, vcc, s22, v0
	v_addc_co_u32_e32 v35, vcc, v35, v1, vcc
	global_load_dwordx2 v[34:35], v[34:35], off
	s_waitcnt vmcnt(0)
	v_mul_f64 v[34:35], v[2:3], v[34:35]
	v_mov_b32_e32 v3, s11
	v_add_co_u32_e32 v2, vcc, s10, v0
	v_addc_co_u32_e32 v3, vcc, v3, v1, vcc
	v_add_co_u32_e32 v28, vcc, s30, v0
	v_addc_co_u32_e32 v29, vcc, v36, v1, vcc
	;; [unrolled: 2-line block ×3, first 2 shown]
	global_load_dwordx2 v[28:29], v[28:29], off
	s_nop 0
	global_load_dwordx2 v[2:3], v[2:3], off
	s_nop 0
	global_load_dwordx2 v[30:31], v[30:31], off
	s_load_dwordx8 s[16:23], s[4:5], 0x98
	s_waitcnt vmcnt(2)
	v_mul_f64 v[8:9], v[8:9], v[28:29]
	v_mul_f64 v[28:29], v[12:13], v[10:11]
	v_fma_f64 v[10:11], v[12:13], v[10:11], v[14:15]
	v_mul_f64 v[12:13], v[22:23], v[18:19]
	v_fma_f64 v[18:19], v[22:23], v[18:19], v[20:21]
	s_waitcnt vmcnt(1)
	v_div_scale_f64 v[22:23], s[0:1], v[32:33], v[32:33], v[2:3]
	s_waitcnt vmcnt(0)
	v_mul_f64 v[16:17], v[16:17], v[30:31]
	v_cmp_nlt_f64_e64 s[2:3], 0, v[8:9]
	s_waitcnt lgkmcnt(0)
	v_mul_f64 v[28:29], s[16:17], v[28:29]
	v_mul_f64 v[10:11], v[10:11], 0.5
	v_mul_f64 v[12:13], s[16:17], v[12:13]
	v_mul_f64 v[18:19], v[18:19], 0.5
	v_mul_f64 v[14:15], s[16:17], v[14:15]
	v_mul_f64 v[20:21], s[16:17], v[20:21]
	v_cmp_nlt_f64_e64 s[4:5], 0, v[16:17]
	v_cndmask_b32_e64 v9, 0, v9, s[2:3]
	v_cndmask_b32_e64 v8, 0, v8, s[2:3]
	v_cmp_lt_f64_e32 vcc, v[28:29], v[10:11]
	v_cmp_lt_f64_e64 s[0:1], v[12:13], v[18:19]
	v_rcp_f64_e32 v[26:27], v[22:23]
	v_cndmask_b32_e64 v17, 0, v17, s[4:5]
	v_cndmask_b32_e64 v16, 0, v16, s[4:5]
	v_cndmask_b32_e32 v11, v11, v29, vcc
	v_cndmask_b32_e32 v10, v10, v28, vcc
	v_mul_f64 v[28:29], v[24:25], v[4:5]
	v_fma_f64 v[4:5], v[24:25], v[4:5], v[6:7]
	v_cndmask_b32_e64 v13, v19, v13, s[0:1]
	v_cndmask_b32_e64 v12, v18, v12, s[0:1]
	v_cmp_nlt_f64_e64 s[0:1], 0, v[34:35]
	v_div_scale_f64 v[18:19], vcc, v[2:3], v[32:33], v[2:3]
	v_mul_f64 v[6:7], s[16:17], v[6:7]
	v_mul_f64 v[28:29], s[16:17], v[28:29]
	v_fma_f64 v[30:31], -v[22:23], v[26:27], 1.0
	v_mul_f64 v[4:5], v[4:5], 0.5
	v_cmp_lt_f64_e64 s[2:3], v[14:15], v[10:11]
	v_cndmask_b32_e64 v25, 0, v35, s[0:1]
	v_cndmask_b32_e64 v24, 0, v34, s[0:1]
	v_mov_b32_e32 v34, s19
	v_mov_b32_e32 v35, s18
	v_fma_f64 v[26:27], v[26:27], v[30:31], v[26:27]
	v_cmp_lt_f64_e64 s[0:1], v[28:29], v[4:5]
	v_cndmask_b32_e64 v11, v11, v15, s[2:3]
	v_cndmask_b32_e64 v10, v10, v14, s[2:3]
	v_cmp_ngt_f64_e64 s[2:3], 0, v[10:11]
	v_fma_f64 v[30:31], -v[22:23], v[26:27], 1.0
	v_cndmask_b32_e64 v5, v5, v29, s[0:1]
	v_cndmask_b32_e64 v4, v4, v28, s[0:1]
	v_cmp_lt_f64_e64 s[4:5], v[6:7], v[4:5]
	v_cmp_lt_f64_e64 s[0:1], v[20:21], v[12:13]
	v_mul_f64 v[28:29], v[8:9], v[8:9]
	v_fma_f64 v[26:27], v[26:27], v[30:31], v[26:27]
	v_cndmask_b32_e64 v5, v5, v7, s[4:5]
	v_cndmask_b32_e64 v4, v4, v6, s[4:5]
	;; [unrolled: 1-line block ×5, first 2 shown]
	v_mul_f64 v[14:15], v[18:19], v[26:27]
	v_cmp_ngt_f64_e64 s[0:1], 0, v[4:5]
	v_cndmask_b32_e64 v6, 0, v10, s[2:3]
	v_cmp_lt_f64_e64 s[2:3], s[18:19], v[6:7]
	v_cmp_ngt_f64_e64 s[4:5], 0, v[12:13]
	v_mul_f64 v[20:21], v[24:25], v[24:25]
	v_fma_f64 v[18:19], -v[22:23], v[14:15], v[18:19]
	v_cndmask_b32_e64 v5, 0, v5, s[0:1]
	v_cndmask_b32_e64 v4, 0, v4, s[0:1]
	v_cndmask_b32_e64 v7, v7, v34, s[2:3]
	v_cmp_lt_f64_e64 s[0:1], s[18:19], v[4:5]
	v_cndmask_b32_e64 v6, v6, v35, s[2:3]
	v_cndmask_b32_e64 v11, 0, v13, s[4:5]
	;; [unrolled: 1-line block ×3, first 2 shown]
	v_div_fmas_f64 v[13:14], v[18:19], v[26:27], v[14:15]
	v_add_f64 v[18:19], -v[6:7], 1.0
	v_fma_f64 v[6:7], -v[6:7], v[6:7], 1.0
	v_cmp_lt_f64_e32 vcc, s[18:19], v[10:11]
	v_cndmask_b32_e64 v5, v5, v34, s[0:1]
	v_cndmask_b32_e64 v4, v4, v35, s[0:1]
	v_add_f64 v[22:23], -v[4:5], 1.0
	v_fma_f64 v[4:5], -v[4:5], v[4:5], 1.0
	v_mul_f64 v[8:9], v[18:19], v[8:9]
	v_mul_f64 v[6:7], v[6:7], v[28:29]
	v_cndmask_b32_e32 v11, v11, v34, vcc
	v_cndmask_b32_e32 v10, v10, v35, vcc
	v_mul_f64 v[18:19], v[16:17], v[16:17]
	v_add_f64 v[26:27], -v[10:11], 1.0
	v_fma_f64 v[10:11], -v[10:11], v[10:11], 1.0
	v_div_fixup_f64 v[2:3], v[13:14], v[32:33], v[2:3]
	v_fma_f64 v[8:9], v[22:23], v[24:25], v[8:9]
	v_fma_f64 v[4:5], v[4:5], v[20:21], v[6:7]
	v_mul_f64 v[6:7], v[2:3], -s[20:21]
	v_mul_f64 v[2:3], s[22:23], v[2:3]
	v_fma_f64 v[8:9], v[26:27], v[16:17], v[8:9]
	v_fma_f64 v[4:5], v[10:11], v[18:19], v[4:5]
	v_mul_f64 v[12:13], v[8:9], v[6:7]
	v_mul_f64 v[22:23], v[2:3], v[4:5]
.LBB13_63:
	s_or_b64 exec, exec, s[8:9]
	v_mov_b32_e32 v3, s15
	v_add_co_u32_e32 v2, vcc, s14, v0
	v_addc_co_u32_e32 v3, vcc, v3, v1, vcc
	global_store_dwordx2 v[2:3], v[22:23], off
	v_mov_b32_e32 v2, s13
	v_add_co_u32_e32 v0, vcc, s12, v0
	v_addc_co_u32_e32 v1, vcc, v2, v1, vcc
	global_store_dwordx2 v[0:1], v[12:13], off
.LBB13_64:
	s_endpgm
	.section	.rodata,"a",@progbits
	.p2align	6, 0x0
	.amdhsa_kernel _Z22calcMonotonicQForElemsPKiPKdPdS3_S2_S2_S2_S2_S2_S2_S2_S2_S0_S0_S0_S0_S0_S0_S2_ddddi
		.amdhsa_group_segment_fixed_size 0
		.amdhsa_private_segment_fixed_size 0
		.amdhsa_kernarg_size 448
		.amdhsa_user_sgpr_count 6
		.amdhsa_user_sgpr_private_segment_buffer 1
		.amdhsa_user_sgpr_dispatch_ptr 0
		.amdhsa_user_sgpr_queue_ptr 0
		.amdhsa_user_sgpr_kernarg_segment_ptr 1
		.amdhsa_user_sgpr_dispatch_id 0
		.amdhsa_user_sgpr_flat_scratch_init 0
		.amdhsa_user_sgpr_private_segment_size 0
		.amdhsa_uses_dynamic_stack 0
		.amdhsa_system_sgpr_private_segment_wavefront_offset 0
		.amdhsa_system_sgpr_workgroup_id_x 1
		.amdhsa_system_sgpr_workgroup_id_y 0
		.amdhsa_system_sgpr_workgroup_id_z 0
		.amdhsa_system_sgpr_workgroup_info 0
		.amdhsa_system_vgpr_workitem_id 0
		.amdhsa_next_free_vgpr 38
		.amdhsa_next_free_sgpr 50
		.amdhsa_reserve_vcc 1
		.amdhsa_reserve_flat_scratch 0
		.amdhsa_float_round_mode_32 0
		.amdhsa_float_round_mode_16_64 0
		.amdhsa_float_denorm_mode_32 3
		.amdhsa_float_denorm_mode_16_64 3
		.amdhsa_dx10_clamp 1
		.amdhsa_ieee_mode 1
		.amdhsa_fp16_overflow 0
		.amdhsa_exception_fp_ieee_invalid_op 0
		.amdhsa_exception_fp_denorm_src 0
		.amdhsa_exception_fp_ieee_div_zero 0
		.amdhsa_exception_fp_ieee_overflow 0
		.amdhsa_exception_fp_ieee_underflow 0
		.amdhsa_exception_fp_ieee_inexact 0
		.amdhsa_exception_int_div_zero 0
	.end_amdhsa_kernel
	.text
.Lfunc_end13:
	.size	_Z22calcMonotonicQForElemsPKiPKdPdS3_S2_S2_S2_S2_S2_S2_S2_S2_S0_S0_S0_S0_S0_S0_S2_ddddi, .Lfunc_end13-_Z22calcMonotonicQForElemsPKiPKdPdS3_S2_S2_S2_S2_S2_S2_S2_S2_S0_S0_S0_S0_S0_S0_S2_ddddi
                                        ; -- End function
	.set _Z22calcMonotonicQForElemsPKiPKdPdS3_S2_S2_S2_S2_S2_S2_S2_S2_S0_S0_S0_S0_S0_S0_S2_ddddi.num_vgpr, 38
	.set _Z22calcMonotonicQForElemsPKiPKdPdS3_S2_S2_S2_S2_S2_S2_S2_S2_S0_S0_S0_S0_S0_S0_S2_ddddi.num_agpr, 0
	.set _Z22calcMonotonicQForElemsPKiPKdPdS3_S2_S2_S2_S2_S2_S2_S2_S2_S0_S0_S0_S0_S0_S0_S2_ddddi.numbered_sgpr, 50
	.set _Z22calcMonotonicQForElemsPKiPKdPdS3_S2_S2_S2_S2_S2_S2_S2_S2_S0_S0_S0_S0_S0_S0_S2_ddddi.num_named_barrier, 0
	.set _Z22calcMonotonicQForElemsPKiPKdPdS3_S2_S2_S2_S2_S2_S2_S2_S2_S0_S0_S0_S0_S0_S0_S2_ddddi.private_seg_size, 0
	.set _Z22calcMonotonicQForElemsPKiPKdPdS3_S2_S2_S2_S2_S2_S2_S2_S2_S0_S0_S0_S0_S0_S0_S2_ddddi.uses_vcc, 1
	.set _Z22calcMonotonicQForElemsPKiPKdPdS3_S2_S2_S2_S2_S2_S2_S2_S2_S0_S0_S0_S0_S0_S0_S2_ddddi.uses_flat_scratch, 0
	.set _Z22calcMonotonicQForElemsPKiPKdPdS3_S2_S2_S2_S2_S2_S2_S2_S2_S0_S0_S0_S0_S0_S0_S2_ddddi.has_dyn_sized_stack, 0
	.set _Z22calcMonotonicQForElemsPKiPKdPdS3_S2_S2_S2_S2_S2_S2_S2_S2_S0_S0_S0_S0_S0_S0_S2_ddddi.has_recursion, 0
	.set _Z22calcMonotonicQForElemsPKiPKdPdS3_S2_S2_S2_S2_S2_S2_S2_S2_S0_S0_S0_S0_S0_S0_S2_ddddi.has_indirect_call, 0
	.section	.AMDGPU.csdata,"",@progbits
; Kernel info:
; codeLenInByte = 2648
; TotalNumSgprs: 54
; NumVgprs: 38
; ScratchSize: 0
; MemoryBound: 0
; FloatMode: 240
; IeeeMode: 1
; LDSByteSize: 0 bytes/workgroup (compile time only)
; SGPRBlocks: 6
; VGPRBlocks: 9
; NumSGPRsForWavesPerEU: 54
; NumVGPRsForWavesPerEU: 38
; Occupancy: 6
; WaveLimiterHint : 1
; COMPUTE_PGM_RSRC2:SCRATCH_EN: 0
; COMPUTE_PGM_RSRC2:USER_SGPR: 6
; COMPUTE_PGM_RSRC2:TRAP_HANDLER: 0
; COMPUTE_PGM_RSRC2:TGID_X_EN: 1
; COMPUTE_PGM_RSRC2:TGID_Y_EN: 0
; COMPUTE_PGM_RSRC2:TGID_Z_EN: 0
; COMPUTE_PGM_RSRC2:TIDIG_COMP_CNT: 0
	.text
	.protected	_Z31applyMaterialPropertiesForElemsPKdS0_S0_PKiS2_PdS3_S3_S3_S3_S3_ddddddddddi ; -- Begin function _Z31applyMaterialPropertiesForElemsPKdS0_S0_PKiS2_PdS3_S3_S3_S3_S3_ddddddddddi
	.globl	_Z31applyMaterialPropertiesForElemsPKdS0_S0_PKiS2_PdS3_S3_S3_S3_S3_ddddddddddi
	.p2align	8
	.type	_Z31applyMaterialPropertiesForElemsPKdS0_S0_PKiS2_PdS3_S3_S3_S3_S3_ddddddddddi,@function
_Z31applyMaterialPropertiesForElemsPKdS0_S0_PKiS2_PdS3_S3_S3_S3_S3_ddddddddddi: ; @_Z31applyMaterialPropertiesForElemsPKdS0_S0_PKiS2_PdS3_S3_S3_S3_S3_ddddddddddi
; %bb.0:
	s_load_dword s0, s[4:5], 0xbc
	s_load_dword s1, s[4:5], 0xa8
	s_waitcnt lgkmcnt(0)
	s_and_b32 s0, s0, 0xffff
	s_mul_i32 s6, s6, s0
	v_add_u32_e32 v0, s6, v0
	v_cmp_gt_i32_e32 vcc, s1, v0
	s_and_saveexec_b64 s[0:1], vcc
	s_cbranch_execz .LBB14_16
; %bb.1:
	s_load_dwordx2 s[0:1], s[4:5], 0x18
	v_ashrrev_i32_e32 v1, 31, v0
	v_lshlrev_b64 v[2:3], 2, v[0:1]
	s_load_dwordx8 s[8:15], s[4:5], 0x70
	v_lshlrev_b64 v[0:1], 3, v[0:1]
	s_waitcnt lgkmcnt(0)
	v_mov_b32_e32 v4, s1
	v_add_co_u32_e32 v2, vcc, s0, v2
	v_addc_co_u32_e32 v3, vcc, v4, v3, vcc
	global_load_dword v26, v[2:3], off
	v_cmp_neq_f64_e64 s[0:1], s[14:15], 0
	s_load_dwordx2 s[6:7], s[4:5], 0x50
	s_load_dwordx8 s[16:23], s[4:5], 0x90
	s_mov_b64 s[24:25], 0
	s_and_b64 vcc, exec, s[0:1]
	s_cbranch_vccnz .LBB14_3
; %bb.2:
	s_waitcnt lgkmcnt(0)
	v_mov_b32_e32 v3, s7
	v_add_co_u32_e32 v2, vcc, s6, v0
	v_addc_co_u32_e32 v3, vcc, v3, v1, vcc
	global_load_dwordx2 v[2:3], v[2:3], off
	s_load_dwordx4 s[0:3], s[4:5], 0x28
	s_load_dwordx2 s[22:23], s[4:5], 0x38
	s_andn2_b64 vcc, exec, s[24:25]
	s_cbranch_vccz .LBB14_4
	s_branch .LBB14_7
.LBB14_3:
                                        ; implicit-def: $vgpr2_vgpr3
	s_load_dwordx4 s[0:3], s[4:5], 0x28
	s_waitcnt lgkmcnt(0)
	s_load_dwordx2 s[22:23], s[4:5], 0x38
.LBB14_4:
	s_waitcnt vmcnt(0)
	v_mov_b32_e32 v2, s7
	v_add_co_u32_e32 v4, vcc, s6, v0
	v_addc_co_u32_e32 v5, vcc, v2, v1, vcc
	global_load_dwordx2 v[2:3], v[4:5], off
	s_waitcnt vmcnt(0)
	v_cmp_gt_f64_e32 vcc, s[14:15], v[2:3]
	s_and_saveexec_b64 s[24:25], vcc
	s_cbranch_execz .LBB14_6
; %bb.5:
	v_mov_b32_e32 v2, s14
	v_mov_b32_e32 v3, s15
	global_store_dwordx2 v[4:5], v[2:3], off
.LBB14_6:
	s_or_b64 exec, exec, s[24:25]
.LBB14_7:
	v_cmp_neq_f64_e64 s[24:25], s[12:13], 0
	s_waitcnt vmcnt(0)
	v_cmp_lt_f64_e32 vcc, s[12:13], v[2:3]
	s_and_b64 s[26:27], s[24:25], vcc
	s_and_saveexec_b64 s[24:25], s[26:27]
	s_cbranch_execz .LBB14_9
; %bb.8:
	v_mov_b32_e32 v2, s7
	v_add_co_u32_e32 v4, vcc, s6, v0
	v_addc_co_u32_e32 v5, vcc, v2, v1, vcc
	v_mov_b32_e32 v2, s12
	v_mov_b32_e32 v3, s13
	global_store_dwordx2 v[4:5], v[2:3], off
.LBB14_9:
	s_or_b64 exec, exec, s[24:25]
	v_mul_f64 v[10:11], v[2:3], v[2:3]
	s_waitcnt lgkmcnt(0)
	v_mov_b32_e32 v5, s23
	v_add_co_u32_e32 v4, vcc, s22, v0
	v_addc_co_u32_e32 v5, vcc, v5, v1, vcc
	v_mov_b32_e32 v7, s3
	v_add_co_u32_e32 v6, vcc, s2, v0
	v_addc_co_u32_e32 v7, vcc, v7, v1, vcc
	;; [unrolled: 3-line block ×3, first 2 shown]
	v_cmp_gt_i32_e32 vcc, 1, v26
	s_and_saveexec_b64 s[0:1], vcc
	s_xor_b64 s[0:1], exec, s[0:1]
; %bb.10:
	v_mul_f64 v[10:11], v[2:3], v[2:3]
                                        ; implicit-def: $vgpr26
; %bb.11:
	s_or_saveexec_b64 s[6:7], s[0:1]
	s_load_dwordx4 s[24:27], s[4:5], 0x40
                                        ; implicit-def: $vgpr24_vgpr25
                                        ; implicit-def: $vgpr12_vgpr13
                                        ; implicit-def: $vgpr18_vgpr19
                                        ; implicit-def: $vgpr20_vgpr21
	s_xor_b64 exec, exec, s[6:7]
	s_cbranch_execz .LBB14_15
; %bb.12:
	s_load_dwordx2 s[22:23], s[4:5], 0x10
	s_load_dwordx4 s[0:3], s[4:5], 0x0
	s_waitcnt lgkmcnt(0)
	v_mov_b32_e32 v13, s23
	v_add_co_u32_e32 v12, vcc, s22, v0
	v_addc_co_u32_e32 v13, vcc, v13, v1, vcc
	v_mov_b32_e32 v15, s3
	v_add_co_u32_e32 v14, vcc, s2, v0
	v_addc_co_u32_e32 v15, vcc, v15, v1, vcc
	;; [unrolled: 3-line block ×3, first 2 shown]
	global_load_dwordx2 v[12:13], v[12:13], off
	s_mov_b64 s[0:1], 0
	global_load_dwordx2 v[14:15], v[14:15], off
	s_nop 0
	global_load_dwordx2 v[16:17], v[20:21], off
	global_load_dwordx2 v[18:19], v[8:9], off
	;; [unrolled: 1-line block ×4, first 2 shown]
.LBB14_13:                              ; =>This Inner Loop Header: Depth=1
	v_add_u32_e32 v26, -1, v26
	v_cmp_eq_u32_e32 vcc, 0, v26
	s_or_b64 s[0:1], vcc, s[0:1]
	s_andn2_b64 exec, exec, s[0:1]
	s_cbranch_execnz .LBB14_13
; %bb.14:
	s_or_b64 exec, exec, s[0:1]
	s_waitcnt vmcnt(5)
	v_fma_f64 v[20:21], v[12:13], -0.5, v[2:3]
	v_div_scale_f64 v[26:27], s[0:1], v[2:3], v[2:3], 1.0
	s_mov_b32 s22, 0x55555555
	s_mov_b32 s23, 0x3fe55555
	;; [unrolled: 1-line block ×5, first 2 shown]
	v_div_scale_f64 v[28:29], s[0:1], v[20:21], v[20:21], 1.0
	v_div_scale_f64 v[38:39], s[0:1], 1.0, v[20:21], 1.0
	s_mov_b32 s31, 0x40080000
	v_rcp_f64_e32 v[30:31], v[26:27]
	v_rcp_f64_e32 v[32:33], v[28:29]
	v_fma_f64 v[34:35], -v[26:27], v[30:31], 1.0
	v_fma_f64 v[36:37], -v[28:29], v[32:33], 1.0
	v_fma_f64 v[30:31], v[30:31], v[34:35], v[30:31]
	v_div_scale_f64 v[34:35], vcc, 1.0, v[2:3], 1.0
	v_fma_f64 v[32:33], v[32:33], v[36:37], v[32:33]
	v_fma_f64 v[36:37], -v[26:27], v[30:31], 1.0
	v_fma_f64 v[40:41], -v[28:29], v[32:33], 1.0
	v_fma_f64 v[30:31], v[30:31], v[36:37], v[30:31]
	v_fma_f64 v[32:33], v[32:33], v[40:41], v[32:33]
	v_mul_f64 v[36:37], v[34:35], v[30:31]
	v_mul_f64 v[40:41], v[38:39], v[32:33]
	v_fma_f64 v[26:27], -v[26:27], v[36:37], v[34:35]
	v_fma_f64 v[28:29], -v[28:29], v[40:41], v[38:39]
	v_div_fmas_f64 v[26:27], v[26:27], v[30:31], v[36:37]
	s_mov_b64 vcc, s[0:1]
	v_cmp_le_f64_e64 s[0:1], s[12:13], v[2:3]
	v_div_fmas_f64 v[28:29], v[28:29], v[32:33], v[40:41]
	v_cmp_nge_f64_e32 vcc, s[14:15], v[2:3]
	s_load_dwordx4 s[12:15], s[4:5], 0x58
	s_waitcnt vmcnt(1)
	v_cndmask_b32_e64 v25, v25, 0, s[0:1]
	v_cndmask_b32_e64 v24, v24, 0, s[0:1]
	v_add_f64 v[18:19], v[24:25], v[18:19]
	s_mov_b32 s4, 0
	s_brev_b32 s5, 8
	v_div_fixup_f64 v[26:27], v[26:27], v[2:3], 1.0
	v_div_fixup_f64 v[28:29], v[28:29], v[20:21], 1.0
	v_add_f64 v[20:21], v[26:27], -1.0
	v_add_f64 v[26:27], v[28:29], -1.0
	v_mov_b32_e32 v28, 0x3ff00000
	v_cndmask_b32_e32 v27, v21, v27, vcc
	v_cndmask_b32_e32 v26, v20, v26, vcc
	v_add_f64 v[26:27], v[26:27], 1.0
	v_add_f64 v[20:21], v[20:21], 1.0
	v_cndmask_b32_e64 v29, v27, v28, s[0:1]
	v_cndmask_b32_e64 v28, v26, 0, s[0:1]
	v_div_scale_f64 v[30:31], s[2:3], v[28:29], v[28:29], 1.0
	v_mul_f64 v[20:21], v[20:21], s[22:23]
	v_rcp_f64_e32 v[26:27], v[30:31]
	v_fma_f64 v[32:33], -v[30:31], v[26:27], 1.0
	v_fma_f64 v[26:27], v[26:27], v[32:33], v[26:27]
	v_div_scale_f64 v[32:33], vcc, 1.0, v[28:29], 1.0
	v_fma_f64 v[34:35], -v[30:31], v[26:27], 1.0
	v_fma_f64 v[34:35], v[26:27], v[34:35], v[26:27]
	v_mul_f64 v[26:27], v[12:13], 0.5
	v_mul_f64 v[36:37], v[32:33], v[34:35]
	s_waitcnt vmcnt(0)
	v_fma_f64 v[22:23], -v[26:27], v[18:19], v[22:23]
	v_fma_f64 v[24:25], -v[30:31], v[36:37], v[32:33]
	v_add_f64 v[32:33], v[22:23], 0
	v_div_fmas_f64 v[30:31], v[24:25], v[34:35], v[36:37]
	v_cmp_gt_f64_e32 vcc, s[18:19], v[22:23]
	v_mul_f64 v[22:23], v[28:29], s[22:23]
	v_mov_b32_e32 v24, s19
	v_mov_b32_e32 v25, s18
	v_cndmask_b32_e32 v36, v33, v24, vcc
	v_cndmask_b32_e32 v35, v32, v25, vcc
	v_mul_f64 v[32:33], v[35:36], v[22:23]
	v_div_fixup_f64 v[28:29], v[30:31], v[28:29], 1.0
	s_waitcnt lgkmcnt(0)
	v_cmp_lt_f64_e64 s[2:3], |v[32:33]|, s[14:15]
	v_mul_f64 v[29:30], v[28:29], v[28:29]
	v_mov_b32_e32 v28, s17
	s_or_b64 s[2:3], s[0:1], s[2:3]
	v_cndmask_b32_e64 v33, v33, 0, s[2:3]
	v_cndmask_b32_e64 v32, v32, 0, s[2:3]
	v_cmp_gt_f64_e32 vcc, s[16:17], v[32:33]
	v_mul_f64 v[22:23], v[22:23], v[29:30]
	v_mov_b32_e32 v29, s16
	v_cndmask_b32_e32 v38, v33, v28, vcc
	v_cndmask_b32_e32 v37, v32, v29, vcc
	v_mul_f64 v[22:23], v[22:23], v[37:38]
	v_fma_f64 v[22:23], v[35:36], s[22:23], v[22:23]
	v_div_scale_f64 v[30:31], s[2:3], s[20:21], s[20:21], v[22:23]
	v_cmp_lt_f64_e64 s[2:3], 0, v[12:13]
	v_rcp_f64_e32 v[32:33], v[30:31]
	v_fma_f64 v[39:40], -v[30:31], v[32:33], 1.0
	v_fma_f64 v[32:33], v[32:33], v[39:40], v[32:33]
	v_div_scale_f64 v[39:40], vcc, v[22:23], s[20:21], v[22:23]
	v_fma_f64 v[41:42], -v[30:31], v[32:33], 1.0
	v_fma_f64 v[32:33], v[32:33], v[41:42], v[32:33]
	v_mul_f64 v[41:42], v[39:40], v[32:33]
	v_fma_f64 v[30:31], -v[30:31], v[41:42], v[39:40]
	v_div_fmas_f64 v[30:31], v[30:31], v[32:33], v[41:42]
	v_div_fixup_f64 v[22:23], v[30:31], s[20:21], v[22:23]
	v_mov_b32_e32 v30, 0x100
	v_cmp_gt_f64_e32 vcc, s[4:5], v[22:23]
	v_cndmask_b32_e32 v31, 0, v30, vcc
	v_ldexp_f64 v[39:40], v[22:23], v31
	v_rsq_f64_e32 v[31:32], v[39:40]
	v_mul_f64 v[33:34], v[39:40], v[31:32]
	v_mul_f64 v[31:32], v[31:32], 0.5
	v_fma_f64 v[41:42], -v[31:32], v[33:34], 0.5
	v_fma_f64 v[33:34], v[33:34], v[41:42], v[33:34]
	v_fma_f64 v[31:32], v[31:32], v[41:42], v[31:32]
	v_fma_f64 v[41:42], -v[33:34], v[33:34], v[39:40]
	v_fma_f64 v[33:34], v[41:42], v[31:32], v[33:34]
	v_fma_f64 v[41:42], -v[33:34], v[33:34], v[39:40]
	v_fma_f64 v[33:34], v[41:42], v[31:32], v[33:34]
	v_mov_b32_e32 v32, 0xffffff80
	v_mov_b32_e32 v31, 0x260
	v_cndmask_b32_e32 v41, 0, v32, vcc
	v_cmp_class_f64_e32 vcc, v[39:40], v31
	v_ldexp_f64 v[41:42], v[33:34], v41
	v_mov_b32_e32 v33, 0x3c18987c
	v_mov_b32_e32 v34, 0xee7f439d
	v_cndmask_b32_e32 v39, v41, v39, vcc
	v_cndmask_b32_e32 v40, v42, v40, vcc
	v_cmp_nge_f64_e32 vcc, s[28:29], v[22:23]
	v_cndmask_b32_e32 v23, v33, v40, vcc
	v_cndmask_b32_e32 v22, v34, v39, vcc
	v_fma_f64 v[22:23], v[16:17], v[22:23], v[14:15]
	v_cndmask_b32_e64 v23, v23, 0, s[2:3]
	v_cndmask_b32_e64 v22, v22, 0, s[2:3]
	v_add_f64 v[37:38], v[37:38], v[22:23]
	v_mul_f64 v[39:40], v[37:38], -4.0
	v_ldexp_f64 v[37:38], -v[37:38], 3
	v_fma_f64 v[39:40], v[18:19], s[30:31], v[39:40]
	v_fma_f64 v[26:27], v[26:27], v[39:40], v[35:36]
	v_mov_b32_e32 v35, 0x3fe55555
	v_mov_b32_e32 v36, 0x55555555
	v_cndmask_b32_e64 v21, v21, v35, s[0:1]
	v_cndmask_b32_e64 v20, v20, v36, s[0:1]
	v_mul_f64 v[39:40], v[10:11], v[20:21]
	v_add_f64 v[26:27], v[26:27], 0
	v_cmp_nlt_f64_e64 vcc, |v[26:27]|, s[12:13]
	v_cndmask_b32_e32 v27, 0, v27, vcc
	v_cndmask_b32_e32 v26, 0, v26, vcc
	v_cmp_gt_f64_e32 vcc, s[18:19], v[26:27]
	v_cndmask_b32_e32 v27, v27, v24, vcc
	v_cndmask_b32_e32 v26, v26, v25, vcc
	v_mul_f64 v[35:36], v[20:21], v[26:27]
	v_cmp_lt_f64_e64 s[30:31], |v[35:36]|, s[14:15]
	s_or_b64 s[30:31], s[0:1], s[30:31]
	v_cndmask_b32_e64 v36, v36, 0, s[30:31]
	v_cndmask_b32_e64 v35, v35, 0, s[30:31]
	v_cmp_gt_f64_e32 vcc, s[16:17], v[35:36]
	v_cndmask_b32_e32 v36, v36, v28, vcc
	v_cndmask_b32_e32 v35, v35, v29, vcc
	v_mul_f64 v[41:42], v[39:40], v[35:36]
	v_fma_f64 v[41:42], v[26:27], s[22:23], v[41:42]
	v_div_scale_f64 v[43:44], s[30:31], s[20:21], s[20:21], v[41:42]
	s_mov_b32 s30, 0
	s_mov_b32 s31, 0x401c0000
	v_fma_f64 v[18:19], v[18:19], s[30:31], v[37:38]
	v_rcp_f64_e32 v[45:46], v[43:44]
	v_fma_f64 v[47:48], -v[43:44], v[45:46], 1.0
	v_fma_f64 v[45:46], v[45:46], v[47:48], v[45:46]
	v_div_scale_f64 v[47:48], vcc, v[41:42], s[20:21], v[41:42]
	v_fma_f64 v[49:50], -v[43:44], v[45:46], 1.0
	v_fma_f64 v[45:46], v[45:46], v[49:50], v[45:46]
	v_mul_f64 v[49:50], v[47:48], v[45:46]
	v_fma_f64 v[43:44], -v[43:44], v[49:50], v[47:48]
	v_div_fmas_f64 v[43:44], v[43:44], v[45:46], v[49:50]
	v_div_fixup_f64 v[41:42], v[43:44], s[20:21], v[41:42]
	v_cmp_gt_f64_e32 vcc, s[4:5], v[41:42]
	v_cndmask_b32_e32 v43, 0, v30, vcc
	v_ldexp_f64 v[43:44], v[41:42], v43
	v_rsq_f64_e32 v[45:46], v[43:44]
	v_mul_f64 v[47:48], v[43:44], v[45:46]
	v_mul_f64 v[45:46], v[45:46], 0.5
	v_fma_f64 v[49:50], -v[45:46], v[47:48], 0.5
	v_fma_f64 v[47:48], v[47:48], v[49:50], v[47:48]
	v_fma_f64 v[45:46], v[45:46], v[49:50], v[45:46]
	v_fma_f64 v[49:50], -v[47:48], v[47:48], v[43:44]
	v_fma_f64 v[47:48], v[49:50], v[45:46], v[47:48]
	v_fma_f64 v[49:50], -v[47:48], v[47:48], v[43:44]
	v_fma_f64 v[45:46], v[49:50], v[45:46], v[47:48]
	v_cndmask_b32_e32 v47, 0, v32, vcc
	v_cmp_class_f64_e32 vcc, v[43:44], v31
	v_ldexp_f64 v[45:46], v[45:46], v47
	v_cndmask_b32_e32 v43, v45, v43, vcc
	v_cndmask_b32_e32 v44, v46, v44, vcc
	v_cmp_nge_f64_e32 vcc, s[28:29], v[41:42]
	v_cndmask_b32_e32 v42, v33, v44, vcc
	v_cndmask_b32_e32 v41, v34, v43, vcc
	v_fma_f64 v[41:42], v[16:17], v[41:42], v[14:15]
	v_cndmask_b32_e64 v38, v42, 0, s[2:3]
	v_cndmask_b32_e64 v37, v41, 0, s[2:3]
	v_add_f64 v[35:36], v[35:36], v[37:38]
	s_mov_b32 s3, 0xbfc55555
	s_mov_b32 s2, s22
	v_add_f64 v[18:19], v[18:19], v[35:36]
	v_mul_f64 v[18:19], v[12:13], v[18:19]
	v_fma_f64 v[18:19], v[18:19], s[2:3], v[26:27]
	v_cmp_nlt_f64_e64 vcc, |v[18:19]|, s[12:13]
	v_cndmask_b32_e32 v19, 0, v19, vcc
	v_cndmask_b32_e32 v18, 0, v18, vcc
	v_cmp_gt_f64_e32 vcc, s[18:19], v[18:19]
	v_cndmask_b32_e32 v19, v19, v24, vcc
	v_cndmask_b32_e32 v18, v18, v25, vcc
	v_mul_f64 v[24:25], v[20:21], v[18:19]
	v_cmp_lt_f64_e64 s[2:3], |v[24:25]|, s[14:15]
	s_or_b64 s[0:1], s[0:1], s[2:3]
	v_cndmask_b32_e64 v25, v25, 0, s[0:1]
	v_cndmask_b32_e64 v24, v24, 0, s[0:1]
	v_cmp_gt_f64_e32 vcc, s[16:17], v[24:25]
	v_cndmask_b32_e32 v25, v25, v28, vcc
	v_cndmask_b32_e32 v24, v24, v29, vcc
	v_mul_f64 v[26:27], v[39:40], v[24:25]
	v_fma_f64 v[26:27], v[18:19], s[22:23], v[26:27]
	v_div_scale_f64 v[28:29], s[0:1], s[20:21], s[20:21], v[26:27]
	v_rcp_f64_e32 v[35:36], v[28:29]
	v_fma_f64 v[37:38], -v[28:29], v[35:36], 1.0
	v_fma_f64 v[35:36], v[35:36], v[37:38], v[35:36]
	v_div_scale_f64 v[37:38], vcc, v[26:27], s[20:21], v[26:27]
	v_fma_f64 v[39:40], -v[28:29], v[35:36], 1.0
	v_fma_f64 v[35:36], v[35:36], v[39:40], v[35:36]
	v_mul_f64 v[39:40], v[37:38], v[35:36]
	v_fma_f64 v[28:29], -v[28:29], v[39:40], v[37:38]
	v_div_fmas_f64 v[28:29], v[28:29], v[35:36], v[39:40]
	v_div_fixup_f64 v[26:27], v[28:29], s[20:21], v[26:27]
	v_cmp_gt_f64_e32 vcc, s[4:5], v[26:27]
	v_cndmask_b32_e32 v28, 0, v30, vcc
	v_ldexp_f64 v[28:29], v[26:27], v28
	v_cndmask_b32_e32 v30, 0, v32, vcc
	v_rsq_f64_e32 v[35:36], v[28:29]
	v_cmp_class_f64_e32 vcc, v[28:29], v31
	v_mul_f64 v[37:38], v[28:29], v[35:36]
	v_mul_f64 v[35:36], v[35:36], 0.5
	v_fma_f64 v[39:40], -v[35:36], v[37:38], 0.5
	v_fma_f64 v[37:38], v[37:38], v[39:40], v[37:38]
	v_fma_f64 v[35:36], v[35:36], v[39:40], v[35:36]
	v_fma_f64 v[39:40], -v[37:38], v[37:38], v[28:29]
	v_fma_f64 v[37:38], v[39:40], v[35:36], v[37:38]
	v_fma_f64 v[39:40], -v[37:38], v[37:38], v[28:29]
	v_fma_f64 v[35:36], v[39:40], v[35:36], v[37:38]
	v_ldexp_f64 v[35:36], v[35:36], v30
	v_cndmask_b32_e32 v28, v35, v28, vcc
	v_cndmask_b32_e32 v29, v36, v29, vcc
	v_cmp_nge_f64_e32 vcc, s[28:29], v[26:27]
	v_cndmask_b32_e32 v27, v33, v29, vcc
	v_cndmask_b32_e32 v26, v34, v28, vcc
	v_fma_f64 v[14:15], v[16:17], v[26:27], v[14:15]
	v_cmp_nge_f64_e32 vcc, 0, v[12:13]
	v_cmp_nlt_f64_e64 s[0:1], |v[14:15]|, s[8:9]
	v_cndmask_b32_e32 v12, v14, v22, vcc
	v_cndmask_b32_e32 v13, v15, v23, vcc
	s_or_b64 vcc, vcc, s[0:1]
	v_cndmask_b32_e32 v13, 0, v13, vcc
	v_cndmask_b32_e32 v12, 0, v12, vcc
.LBB14_15:
	s_or_b64 exec, exec, s[6:7]
	v_mul_f64 v[10:11], v[10:11], v[20:21]
	s_mov_b32 s0, 0x55555555
	s_mov_b32 s1, 0x3fe55555
	global_store_dwordx2 v[6:7], v[24:25], off
	global_store_dwordx2 v[4:5], v[18:19], off
	;; [unrolled: 1-line block ×3, first 2 shown]
	v_mov_b32_e32 v8, 0xffffff80
	v_mov_b32_e32 v9, 0x260
	v_add_f64 v[6:7], v[2:3], -1.0
	s_mov_b32 s2, 0x2a37d1a0
	v_mul_f64 v[10:11], v[10:11], v[24:25]
	s_waitcnt lgkmcnt(0)
	v_mov_b32_e32 v26, s27
	s_mov_b32 s3, 0x3842e792
	v_mov_b32_e32 v12, 0x3c18987c
	v_mov_b32_e32 v13, 0xee7f439d
	v_fma_f64 v[10:11], v[18:19], s[0:1], v[10:11]
	v_div_scale_f64 v[14:15], s[0:1], s[20:21], s[20:21], v[10:11]
	s_mov_b32 s0, 0
	s_brev_b32 s1, 8
	v_rcp_f64_e32 v[16:17], v[14:15]
	v_fma_f64 v[20:21], -v[14:15], v[16:17], 1.0
	v_fma_f64 v[16:17], v[16:17], v[20:21], v[16:17]
	v_div_scale_f64 v[20:21], vcc, v[10:11], s[20:21], v[10:11]
	v_fma_f64 v[22:23], -v[14:15], v[16:17], 1.0
	v_fma_f64 v[16:17], v[16:17], v[22:23], v[16:17]
	v_mul_f64 v[22:23], v[20:21], v[16:17]
	v_fma_f64 v[14:15], -v[14:15], v[22:23], v[20:21]
	v_div_fmas_f64 v[14:15], v[14:15], v[16:17], v[22:23]
	v_div_fixup_f64 v[10:11], v[14:15], s[20:21], v[10:11]
	v_mov_b32_e32 v14, 0x100
	v_cmp_gt_f64_e32 vcc, s[0:1], v[10:11]
	v_cndmask_b32_e32 v14, 0, v14, vcc
	v_ldexp_f64 v[14:15], v[10:11], v14
	v_cndmask_b32_e32 v8, 0, v8, vcc
	v_rsq_f64_e32 v[16:17], v[14:15]
	v_cmp_class_f64_e32 vcc, v[14:15], v9
	v_mul_f64 v[20:21], v[14:15], v[16:17]
	v_mul_f64 v[16:17], v[16:17], 0.5
	v_fma_f64 v[22:23], -v[16:17], v[20:21], 0.5
	v_fma_f64 v[20:21], v[20:21], v[22:23], v[20:21]
	v_fma_f64 v[16:17], v[16:17], v[22:23], v[16:17]
	v_fma_f64 v[22:23], -v[20:21], v[20:21], v[14:15]
	v_fma_f64 v[20:21], v[22:23], v[16:17], v[20:21]
	v_fma_f64 v[22:23], -v[20:21], v[20:21], v[14:15]
	v_fma_f64 v[4:5], v[22:23], v[16:17], v[20:21]
	v_mov_b32_e32 v16, s25
	v_mov_b32_e32 v17, 0x3ff00000
	v_ldexp_f64 v[4:5], v[4:5], v8
	v_add_co_u32_e64 v8, s[0:1], s26, v0
	v_addc_co_u32_e64 v9, s[0:1], v26, v1, s[0:1]
	v_cmp_nlt_f64_e64 s[0:1], |v[6:7]|, s[10:11]
	v_cndmask_b32_e32 v4, v4, v14, vcc
	v_cndmask_b32_e32 v5, v5, v15, vcc
	v_cmp_nge_f64_e32 vcc, s[2:3], v[10:11]
	v_add_co_u32_e64 v0, s[2:3], s24, v0
	v_addc_co_u32_e64 v1, s[2:3], v16, v1, s[2:3]
	v_cndmask_b32_e64 v3, v17, v3, s[0:1]
	v_cndmask_b32_e64 v2, 0, v2, s[0:1]
	v_cndmask_b32_e32 v5, v12, v5, vcc
	v_cndmask_b32_e32 v4, v13, v4, vcc
	global_store_dwordx2 v[0:1], v[4:5], off
	global_store_dwordx2 v[8:9], v[2:3], off
.LBB14_16:
	s_endpgm
	.section	.rodata,"a",@progbits
	.p2align	6, 0x0
	.amdhsa_kernel _Z31applyMaterialPropertiesForElemsPKdS0_S0_PKiS2_PdS3_S3_S3_S3_S3_ddddddddddi
		.amdhsa_group_segment_fixed_size 0
		.amdhsa_private_segment_fixed_size 0
		.amdhsa_kernarg_size 432
		.amdhsa_user_sgpr_count 6
		.amdhsa_user_sgpr_private_segment_buffer 1
		.amdhsa_user_sgpr_dispatch_ptr 0
		.amdhsa_user_sgpr_queue_ptr 0
		.amdhsa_user_sgpr_kernarg_segment_ptr 1
		.amdhsa_user_sgpr_dispatch_id 0
		.amdhsa_user_sgpr_flat_scratch_init 0
		.amdhsa_user_sgpr_private_segment_size 0
		.amdhsa_uses_dynamic_stack 0
		.amdhsa_system_sgpr_private_segment_wavefront_offset 0
		.amdhsa_system_sgpr_workgroup_id_x 1
		.amdhsa_system_sgpr_workgroup_id_y 0
		.amdhsa_system_sgpr_workgroup_id_z 0
		.amdhsa_system_sgpr_workgroup_info 0
		.amdhsa_system_vgpr_workitem_id 0
		.amdhsa_next_free_vgpr 51
		.amdhsa_next_free_sgpr 32
		.amdhsa_reserve_vcc 1
		.amdhsa_reserve_flat_scratch 0
		.amdhsa_float_round_mode_32 0
		.amdhsa_float_round_mode_16_64 0
		.amdhsa_float_denorm_mode_32 3
		.amdhsa_float_denorm_mode_16_64 3
		.amdhsa_dx10_clamp 1
		.amdhsa_ieee_mode 1
		.amdhsa_fp16_overflow 0
		.amdhsa_exception_fp_ieee_invalid_op 0
		.amdhsa_exception_fp_denorm_src 0
		.amdhsa_exception_fp_ieee_div_zero 0
		.amdhsa_exception_fp_ieee_overflow 0
		.amdhsa_exception_fp_ieee_underflow 0
		.amdhsa_exception_fp_ieee_inexact 0
		.amdhsa_exception_int_div_zero 0
	.end_amdhsa_kernel
	.text
.Lfunc_end14:
	.size	_Z31applyMaterialPropertiesForElemsPKdS0_S0_PKiS2_PdS3_S3_S3_S3_S3_ddddddddddi, .Lfunc_end14-_Z31applyMaterialPropertiesForElemsPKdS0_S0_PKiS2_PdS3_S3_S3_S3_S3_ddddddddddi
                                        ; -- End function
	.set _Z31applyMaterialPropertiesForElemsPKdS0_S0_PKiS2_PdS3_S3_S3_S3_S3_ddddddddddi.num_vgpr, 51
	.set _Z31applyMaterialPropertiesForElemsPKdS0_S0_PKiS2_PdS3_S3_S3_S3_S3_ddddddddddi.num_agpr, 0
	.set _Z31applyMaterialPropertiesForElemsPKdS0_S0_PKiS2_PdS3_S3_S3_S3_S3_ddddddddddi.numbered_sgpr, 32
	.set _Z31applyMaterialPropertiesForElemsPKdS0_S0_PKiS2_PdS3_S3_S3_S3_S3_ddddddddddi.num_named_barrier, 0
	.set _Z31applyMaterialPropertiesForElemsPKdS0_S0_PKiS2_PdS3_S3_S3_S3_S3_ddddddddddi.private_seg_size, 0
	.set _Z31applyMaterialPropertiesForElemsPKdS0_S0_PKiS2_PdS3_S3_S3_S3_S3_ddddddddddi.uses_vcc, 1
	.set _Z31applyMaterialPropertiesForElemsPKdS0_S0_PKiS2_PdS3_S3_S3_S3_S3_ddddddddddi.uses_flat_scratch, 0
	.set _Z31applyMaterialPropertiesForElemsPKdS0_S0_PKiS2_PdS3_S3_S3_S3_S3_ddddddddddi.has_dyn_sized_stack, 0
	.set _Z31applyMaterialPropertiesForElemsPKdS0_S0_PKiS2_PdS3_S3_S3_S3_S3_ddddddddddi.has_recursion, 0
	.set _Z31applyMaterialPropertiesForElemsPKdS0_S0_PKiS2_PdS3_S3_S3_S3_S3_ddddddddddi.has_indirect_call, 0
	.section	.AMDGPU.csdata,"",@progbits
; Kernel info:
; codeLenInByte = 2704
; TotalNumSgprs: 36
; NumVgprs: 51
; ScratchSize: 0
; MemoryBound: 0
; FloatMode: 240
; IeeeMode: 1
; LDSByteSize: 0 bytes/workgroup (compile time only)
; SGPRBlocks: 4
; VGPRBlocks: 12
; NumSGPRsForWavesPerEU: 36
; NumVGPRsForWavesPerEU: 51
; Occupancy: 4
; WaveLimiterHint : 0
; COMPUTE_PGM_RSRC2:SCRATCH_EN: 0
; COMPUTE_PGM_RSRC2:USER_SGPR: 6
; COMPUTE_PGM_RSRC2:TRAP_HANDLER: 0
; COMPUTE_PGM_RSRC2:TGID_X_EN: 1
; COMPUTE_PGM_RSRC2:TGID_Y_EN: 0
; COMPUTE_PGM_RSRC2:TGID_Z_EN: 0
; COMPUTE_PGM_RSRC2:TIDIG_COMP_CNT: 0
	.section	.AMDGPU.gpr_maximums,"",@progbits
	.set amdgpu.max_num_vgpr, 0
	.set amdgpu.max_num_agpr, 0
	.set amdgpu.max_num_sgpr, 0
	.section	.AMDGPU.csdata,"",@progbits
	.type	__hip_cuid_bea53aeb0766650a,@object ; @__hip_cuid_bea53aeb0766650a
	.section	.bss,"aw",@nobits
	.globl	__hip_cuid_bea53aeb0766650a
__hip_cuid_bea53aeb0766650a:
	.byte	0                               ; 0x0
	.size	__hip_cuid_bea53aeb0766650a, 1

	.ident	"AMD clang version 22.0.0git (https://github.com/RadeonOpenCompute/llvm-project roc-7.2.4 26084 f58b06dce1f9c15707c5f808fd002e18c2accf7e)"
	.section	".note.GNU-stack","",@progbits
	.addrsig
	.addrsig_sym __hip_cuid_bea53aeb0766650a
	.amdgpu_metadata
---
amdhsa.kernels:
  - .args:
      - .actual_access:  write_only
        .address_space:  global
        .offset:         0
        .size:           8
        .value_kind:     global_buffer
      - .actual_access:  write_only
        .address_space:  global
        .offset:         8
        .size:           8
        .value_kind:     global_buffer
      - .actual_access:  write_only
        .address_space:  global
        .offset:         16
        .size:           8
        .value_kind:     global_buffer
      - .actual_access:  read_only
        .address_space:  global
        .offset:         24
        .size:           8
        .value_kind:     global_buffer
      - .actual_access:  read_only
        .address_space:  global
        .offset:         32
        .size:           8
        .value_kind:     global_buffer
      - .offset:         40
        .size:           4
        .value_kind:     by_value
      - .offset:         48
        .size:           4
        .value_kind:     hidden_block_count_x
      - .offset:         52
        .size:           4
        .value_kind:     hidden_block_count_y
      - .offset:         56
        .size:           4
        .value_kind:     hidden_block_count_z
      - .offset:         60
        .size:           2
        .value_kind:     hidden_group_size_x
      - .offset:         62
        .size:           2
        .value_kind:     hidden_group_size_y
      - .offset:         64
        .size:           2
        .value_kind:     hidden_group_size_z
      - .offset:         66
        .size:           2
        .value_kind:     hidden_remainder_x
      - .offset:         68
        .size:           2
        .value_kind:     hidden_remainder_y
      - .offset:         70
        .size:           2
        .value_kind:     hidden_remainder_z
      - .offset:         88
        .size:           8
        .value_kind:     hidden_global_offset_x
      - .offset:         96
        .size:           8
        .value_kind:     hidden_global_offset_y
      - .offset:         104
        .size:           8
        .value_kind:     hidden_global_offset_z
      - .offset:         112
        .size:           2
        .value_kind:     hidden_grid_dims
    .group_segment_fixed_size: 0
    .kernarg_segment_align: 8
    .kernarg_segment_size: 304
    .language:       OpenCL C
    .language_version:
      - 2
      - 0
    .max_flat_workgroup_size: 1024
    .name:           _Z8fill_sigPdS_S_PKdS1_i
    .private_segment_fixed_size: 0
    .sgpr_count:     20
    .sgpr_spill_count: 0
    .symbol:         _Z8fill_sigPdS_S_PKdS1_i.kd
    .uniform_work_group_size: 1
    .uses_dynamic_stack: false
    .vgpr_count:     10
    .vgpr_spill_count: 0
    .wavefront_size: 64
  - .args:
      - .actual_access:  write_only
        .address_space:  global
        .offset:         0
        .size:           8
        .value_kind:     global_buffer
      - .actual_access:  write_only
        .address_space:  global
        .offset:         8
        .size:           8
        .value_kind:     global_buffer
      - .actual_access:  write_only
        .address_space:  global
        .offset:         16
        .size:           8
        .value_kind:     global_buffer
      - .actual_access:  read_only
        .address_space:  global
        .offset:         24
        .size:           8
        .value_kind:     global_buffer
      - .actual_access:  read_only
        .address_space:  global
        .offset:         32
        .size:           8
        .value_kind:     global_buffer
      - .actual_access:  read_only
        .address_space:  global
        .offset:         40
        .size:           8
        .value_kind:     global_buffer
      - .actual_access:  read_only
        .address_space:  global
        .offset:         48
        .size:           8
        .value_kind:     global_buffer
      - .actual_access:  read_only
        .address_space:  global
        .offset:         56
        .size:           8
        .value_kind:     global_buffer
      - .actual_access:  read_only
        .address_space:  global
        .offset:         64
        .size:           8
        .value_kind:     global_buffer
      - .actual_access:  read_only
        .address_space:  global
        .offset:         72
        .size:           8
        .value_kind:     global_buffer
      - .actual_access:  write_only
        .address_space:  global
        .offset:         80
        .size:           8
        .value_kind:     global_buffer
      - .offset:         88
        .size:           4
        .value_kind:     by_value
      - .offset:         96
        .size:           4
        .value_kind:     hidden_block_count_x
      - .offset:         100
        .size:           4
        .value_kind:     hidden_block_count_y
      - .offset:         104
        .size:           4
        .value_kind:     hidden_block_count_z
      - .offset:         108
        .size:           2
        .value_kind:     hidden_group_size_x
      - .offset:         110
        .size:           2
        .value_kind:     hidden_group_size_y
      - .offset:         112
        .size:           2
        .value_kind:     hidden_group_size_z
      - .offset:         114
        .size:           2
        .value_kind:     hidden_remainder_x
      - .offset:         116
        .size:           2
        .value_kind:     hidden_remainder_y
      - .offset:         118
        .size:           2
        .value_kind:     hidden_remainder_z
      - .offset:         136
        .size:           8
        .value_kind:     hidden_global_offset_x
      - .offset:         144
        .size:           8
        .value_kind:     hidden_global_offset_y
      - .offset:         152
        .size:           8
        .value_kind:     hidden_global_offset_z
      - .offset:         160
        .size:           2
        .value_kind:     hidden_grid_dims
    .group_segment_fixed_size: 0
    .kernarg_segment_align: 8
    .kernarg_segment_size: 352
    .language:       OpenCL C
    .language_version:
      - 2
      - 0
    .max_flat_workgroup_size: 1024
    .name:           _Z15integrateStressPdS_S_PKdS1_S1_PKiS1_S1_S1_S_i
    .private_segment_fixed_size: 196
    .sgpr_count:     32
    .sgpr_spill_count: 0
    .symbol:         _Z15integrateStressPdS_S_PKdS1_S1_PKiS1_S1_S1_S_i.kd
    .uniform_work_group_size: 1
    .uses_dynamic_stack: false
    .vgpr_count:     64
    .vgpr_spill_count: 50
    .wavefront_size: 64
  - .args:
      - .actual_access:  read_only
        .address_space:  global
        .offset:         0
        .size:           8
        .value_kind:     global_buffer
      - .actual_access:  read_only
        .address_space:  global
        .offset:         8
        .size:           8
        .value_kind:     global_buffer
      - .actual_access:  read_only
        .address_space:  global
        .offset:         16
        .size:           8
        .value_kind:     global_buffer
      - .actual_access:  write_only
        .address_space:  global
        .offset:         24
        .size:           8
        .value_kind:     global_buffer
      - .actual_access:  write_only
        .address_space:  global
        .offset:         32
        .size:           8
        .value_kind:     global_buffer
      - .actual_access:  write_only
        .address_space:  global
        .offset:         40
        .size:           8
        .value_kind:     global_buffer
      - .actual_access:  read_only
        .address_space:  global
        .offset:         48
        .size:           8
        .value_kind:     global_buffer
      - .actual_access:  read_only
        .address_space:  global
        .offset:         56
        .size:           8
        .value_kind:     global_buffer
      - .offset:         64
        .size:           4
        .value_kind:     by_value
      - .offset:         72
        .size:           4
        .value_kind:     hidden_block_count_x
      - .offset:         76
        .size:           4
        .value_kind:     hidden_block_count_y
      - .offset:         80
        .size:           4
        .value_kind:     hidden_block_count_z
      - .offset:         84
        .size:           2
        .value_kind:     hidden_group_size_x
      - .offset:         86
        .size:           2
        .value_kind:     hidden_group_size_y
      - .offset:         88
        .size:           2
        .value_kind:     hidden_group_size_z
      - .offset:         90
        .size:           2
        .value_kind:     hidden_remainder_x
      - .offset:         92
        .size:           2
        .value_kind:     hidden_remainder_y
      - .offset:         94
        .size:           2
        .value_kind:     hidden_remainder_z
      - .offset:         112
        .size:           8
        .value_kind:     hidden_global_offset_x
      - .offset:         120
        .size:           8
        .value_kind:     hidden_global_offset_y
      - .offset:         128
        .size:           8
        .value_kind:     hidden_global_offset_z
      - .offset:         136
        .size:           2
        .value_kind:     hidden_grid_dims
    .group_segment_fixed_size: 0
    .kernarg_segment_align: 8
    .kernarg_segment_size: 328
    .language:       OpenCL C
    .language_version:
      - 2
      - 0
    .max_flat_workgroup_size: 1024
    .name:           _Z15acc_final_forcePKdS0_S0_PdS1_S1_PKiS3_i
    .private_segment_fixed_size: 0
    .sgpr_count:     24
    .sgpr_spill_count: 0
    .symbol:         _Z15acc_final_forcePKdS0_S0_PdS1_S1_PKiS3_i.kd
    .uniform_work_group_size: 1
    .uses_dynamic_stack: false
    .vgpr_count:     26
    .vgpr_spill_count: 0
    .wavefront_size: 64
  - .args:
      - .actual_access:  write_only
        .address_space:  global
        .offset:         0
        .size:           8
        .value_kind:     global_buffer
      - .actual_access:  write_only
        .address_space:  global
        .offset:         8
        .size:           8
        .value_kind:     global_buffer
      - .actual_access:  write_only
        .address_space:  global
        .offset:         16
        .size:           8
        .value_kind:     global_buffer
      - .actual_access:  write_only
        .address_space:  global
        .offset:         24
        .size:           8
        .value_kind:     global_buffer
      - .actual_access:  write_only
        .address_space:  global
        .offset:         32
        .size:           8
        .value_kind:     global_buffer
      - .actual_access:  write_only
        .address_space:  global
        .offset:         40
        .size:           8
        .value_kind:     global_buffer
      - .actual_access:  write_only
        .address_space:  global
        .offset:         48
        .size:           8
        .value_kind:     global_buffer
      - .actual_access:  read_only
        .address_space:  global
        .offset:         56
        .size:           8
        .value_kind:     global_buffer
      - .actual_access:  read_only
        .address_space:  global
        .offset:         64
        .size:           8
        .value_kind:     global_buffer
      - .actual_access:  read_only
        .address_space:  global
        .offset:         72
        .size:           8
        .value_kind:     global_buffer
      - .actual_access:  read_only
        .address_space:  global
        .offset:         80
        .size:           8
        .value_kind:     global_buffer
      - .actual_access:  read_only
        .address_space:  global
        .offset:         88
        .size:           8
        .value_kind:     global_buffer
      - .actual_access:  read_only
        .address_space:  global
        .offset:         96
        .size:           8
        .value_kind:     global_buffer
      - .actual_access:  write_only
        .address_space:  global
        .offset:         104
        .size:           8
        .value_kind:     global_buffer
      - .offset:         112
        .size:           4
        .value_kind:     by_value
      - .offset:         120
        .size:           4
        .value_kind:     hidden_block_count_x
      - .offset:         124
        .size:           4
        .value_kind:     hidden_block_count_y
      - .offset:         128
        .size:           4
        .value_kind:     hidden_block_count_z
      - .offset:         132
        .size:           2
        .value_kind:     hidden_group_size_x
      - .offset:         134
        .size:           2
        .value_kind:     hidden_group_size_y
      - .offset:         136
        .size:           2
        .value_kind:     hidden_group_size_z
      - .offset:         138
        .size:           2
        .value_kind:     hidden_remainder_x
      - .offset:         140
        .size:           2
        .value_kind:     hidden_remainder_y
      - .offset:         142
        .size:           2
        .value_kind:     hidden_remainder_z
      - .offset:         160
        .size:           8
        .value_kind:     hidden_global_offset_x
      - .offset:         168
        .size:           8
        .value_kind:     hidden_global_offset_y
      - .offset:         176
        .size:           8
        .value_kind:     hidden_global_offset_z
      - .offset:         184
        .size:           2
        .value_kind:     hidden_grid_dims
    .group_segment_fixed_size: 0
    .kernarg_segment_align: 8
    .kernarg_segment_size: 376
    .language:       OpenCL C
    .language_version:
      - 2
      - 0
    .max_flat_workgroup_size: 1024
    .name:           _Z3hgcPdS_S_S_S_S_S_PKdS1_S1_PKiS1_S1_Pii
    .private_segment_fixed_size: 372
    .sgpr_count:     44
    .sgpr_spill_count: 0
    .symbol:         _Z3hgcPdS_S_S_S_S_S_PKdS1_S1_PKiS1_S1_Pii.kd
    .uniform_work_group_size: 1
    .uses_dynamic_stack: false
    .vgpr_count:     63
    .vgpr_spill_count: 100
    .wavefront_size: 64
  - .args:
      - .actual_access:  read_only
        .address_space:  global
        .offset:         0
        .size:           8
        .value_kind:     global_buffer
      - .actual_access:  read_only
        .address_space:  global
        .offset:         8
        .size:           8
        .value_kind:     global_buffer
      - .actual_access:  read_only
        .address_space:  global
        .offset:         16
        .size:           8
        .value_kind:     global_buffer
      - .actual_access:  read_only
        .address_space:  global
        .offset:         24
        .size:           8
        .value_kind:     global_buffer
      - .actual_access:  read_only
        .address_space:  global
        .offset:         32
        .size:           8
        .value_kind:     global_buffer
      - .actual_access:  read_only
        .address_space:  global
        .offset:         40
        .size:           8
        .value_kind:     global_buffer
      - .actual_access:  read_only
        .address_space:  global
        .offset:         48
        .size:           8
        .value_kind:     global_buffer
      - .actual_access:  read_only
        .address_space:  global
        .offset:         56
        .size:           8
        .value_kind:     global_buffer
      - .actual_access:  read_only
        .address_space:  global
        .offset:         64
        .size:           8
        .value_kind:     global_buffer
      - .actual_access:  read_only
        .address_space:  global
        .offset:         72
        .size:           8
        .value_kind:     global_buffer
      - .actual_access:  read_only
        .address_space:  global
        .offset:         80
        .size:           8
        .value_kind:     global_buffer
      - .actual_access:  read_only
        .address_space:  global
        .offset:         88
        .size:           8
        .value_kind:     global_buffer
      - .actual_access:  read_only
        .address_space:  global
        .offset:         96
        .size:           8
        .value_kind:     global_buffer
      - .actual_access:  read_only
        .address_space:  global
        .offset:         104
        .size:           8
        .value_kind:     global_buffer
      - .actual_access:  write_only
        .address_space:  global
        .offset:         112
        .size:           8
        .value_kind:     global_buffer
      - .actual_access:  write_only
        .address_space:  global
        .offset:         120
        .size:           8
        .value_kind:     global_buffer
      - .actual_access:  write_only
        .address_space:  global
        .offset:         128
        .size:           8
        .value_kind:     global_buffer
      - .offset:         136
        .size:           8
        .value_kind:     by_value
      - .offset:         144
        .size:           4
        .value_kind:     by_value
      - .offset:         152
        .size:           4
        .value_kind:     hidden_block_count_x
      - .offset:         156
        .size:           4
        .value_kind:     hidden_block_count_y
      - .offset:         160
        .size:           4
        .value_kind:     hidden_block_count_z
      - .offset:         164
        .size:           2
        .value_kind:     hidden_group_size_x
      - .offset:         166
        .size:           2
        .value_kind:     hidden_group_size_y
      - .offset:         168
        .size:           2
        .value_kind:     hidden_group_size_z
      - .offset:         170
        .size:           2
        .value_kind:     hidden_remainder_x
      - .offset:         172
        .size:           2
        .value_kind:     hidden_remainder_y
      - .offset:         174
        .size:           2
        .value_kind:     hidden_remainder_z
      - .offset:         192
        .size:           8
        .value_kind:     hidden_global_offset_x
      - .offset:         200
        .size:           8
        .value_kind:     hidden_global_offset_y
      - .offset:         208
        .size:           8
        .value_kind:     hidden_global_offset_z
      - .offset:         216
        .size:           2
        .value_kind:     hidden_grid_dims
    .group_segment_fixed_size: 0
    .kernarg_segment_align: 8
    .kernarg_segment_size: 408
    .language:       OpenCL C
    .language_version:
      - 2
      - 0
    .max_flat_workgroup_size: 1024
    .name:           _Z2fbPKdS0_S0_S0_S0_S0_S0_S0_S0_S0_S0_S0_PKiS0_PdS3_S3_di
    .private_segment_fixed_size: 380
    .sgpr_count:     100
    .sgpr_spill_count: 16
    .symbol:         _Z2fbPKdS0_S0_S0_S0_S0_S0_S0_S0_S0_S0_S0_PKiS0_PdS3_S3_di.kd
    .uniform_work_group_size: 1
    .uses_dynamic_stack: false
    .vgpr_count:     63
    .vgpr_spill_count: 174
    .wavefront_size: 64
  - .args:
      - .actual_access:  read_only
        .address_space:  global
        .offset:         0
        .size:           8
        .value_kind:     global_buffer
      - .actual_access:  read_only
        .address_space:  global
        .offset:         8
        .size:           8
        .value_kind:     global_buffer
      - .actual_access:  read_only
        .address_space:  global
        .offset:         16
        .size:           8
        .value_kind:     global_buffer
      - .actual_access:  write_only
        .address_space:  global
        .offset:         24
        .size:           8
        .value_kind:     global_buffer
      - .actual_access:  write_only
        .address_space:  global
        .offset:         32
        .size:           8
        .value_kind:     global_buffer
      - .actual_access:  write_only
        .address_space:  global
        .offset:         40
        .size:           8
        .value_kind:     global_buffer
      - .actual_access:  read_only
        .address_space:  global
        .offset:         48
        .size:           8
        .value_kind:     global_buffer
      - .actual_access:  read_only
        .address_space:  global
        .offset:         56
        .size:           8
        .value_kind:     global_buffer
      - .offset:         64
        .size:           4
        .value_kind:     by_value
      - .offset:         72
        .size:           4
        .value_kind:     hidden_block_count_x
      - .offset:         76
        .size:           4
        .value_kind:     hidden_block_count_y
      - .offset:         80
        .size:           4
        .value_kind:     hidden_block_count_z
      - .offset:         84
        .size:           2
        .value_kind:     hidden_group_size_x
      - .offset:         86
        .size:           2
        .value_kind:     hidden_group_size_y
      - .offset:         88
        .size:           2
        .value_kind:     hidden_group_size_z
      - .offset:         90
        .size:           2
        .value_kind:     hidden_remainder_x
      - .offset:         92
        .size:           2
        .value_kind:     hidden_remainder_y
      - .offset:         94
        .size:           2
        .value_kind:     hidden_remainder_z
      - .offset:         112
        .size:           8
        .value_kind:     hidden_global_offset_x
      - .offset:         120
        .size:           8
        .value_kind:     hidden_global_offset_y
      - .offset:         128
        .size:           8
        .value_kind:     hidden_global_offset_z
      - .offset:         136
        .size:           2
        .value_kind:     hidden_grid_dims
    .group_segment_fixed_size: 0
    .kernarg_segment_align: 8
    .kernarg_segment_size: 328
    .language:       OpenCL C
    .language_version:
      - 2
      - 0
    .max_flat_workgroup_size: 1024
    .name:           _Z19collect_final_forcePKdS0_S0_PdS1_S1_PKiS3_i
    .private_segment_fixed_size: 0
    .sgpr_count:     24
    .sgpr_spill_count: 0
    .symbol:         _Z19collect_final_forcePKdS0_S0_PdS1_S1_PKiS3_i.kd
    .uniform_work_group_size: 1
    .uses_dynamic_stack: false
    .vgpr_count:     26
    .vgpr_spill_count: 0
    .wavefront_size: 64
  - .args:
      - .actual_access:  read_only
        .address_space:  global
        .offset:         0
        .size:           8
        .value_kind:     global_buffer
      - .actual_access:  read_only
        .address_space:  global
        .offset:         8
        .size:           8
        .value_kind:     global_buffer
      - .actual_access:  read_only
        .address_space:  global
        .offset:         16
        .size:           8
        .value_kind:     global_buffer
      - .actual_access:  read_only
        .address_space:  global
        .offset:         24
        .size:           8
        .value_kind:     global_buffer
      - .actual_access:  write_only
        .address_space:  global
        .offset:         32
        .size:           8
        .value_kind:     global_buffer
      - .actual_access:  write_only
        .address_space:  global
        .offset:         40
        .size:           8
        .value_kind:     global_buffer
      - .actual_access:  write_only
        .address_space:  global
        .offset:         48
        .size:           8
        .value_kind:     global_buffer
      - .offset:         56
        .size:           4
        .value_kind:     by_value
      - .offset:         64
        .size:           4
        .value_kind:     hidden_block_count_x
      - .offset:         68
        .size:           4
        .value_kind:     hidden_block_count_y
      - .offset:         72
        .size:           4
        .value_kind:     hidden_block_count_z
      - .offset:         76
        .size:           2
        .value_kind:     hidden_group_size_x
      - .offset:         78
        .size:           2
        .value_kind:     hidden_group_size_y
      - .offset:         80
        .size:           2
        .value_kind:     hidden_group_size_z
      - .offset:         82
        .size:           2
        .value_kind:     hidden_remainder_x
      - .offset:         84
        .size:           2
        .value_kind:     hidden_remainder_y
      - .offset:         86
        .size:           2
        .value_kind:     hidden_remainder_z
      - .offset:         104
        .size:           8
        .value_kind:     hidden_global_offset_x
      - .offset:         112
        .size:           8
        .value_kind:     hidden_global_offset_y
      - .offset:         120
        .size:           8
        .value_kind:     hidden_global_offset_z
      - .offset:         128
        .size:           2
        .value_kind:     hidden_grid_dims
    .group_segment_fixed_size: 0
    .kernarg_segment_align: 8
    .kernarg_segment_size: 320
    .language:       OpenCL C
    .language_version:
      - 2
      - 0
    .max_flat_workgroup_size: 1024
    .name:           _Z19accelerationForNodePKdS0_S0_S0_PdS1_S1_i
    .private_segment_fixed_size: 0
    .sgpr_count:     20
    .sgpr_spill_count: 0
    .symbol:         _Z19accelerationForNodePKdS0_S0_S0_PdS1_S1_i.kd
    .uniform_work_group_size: 1
    .uses_dynamic_stack: false
    .vgpr_count:     20
    .vgpr_spill_count: 0
    .wavefront_size: 64
  - .args:
      - .actual_access:  read_only
        .address_space:  global
        .offset:         0
        .size:           8
        .value_kind:     global_buffer
      - .actual_access:  read_only
        .address_space:  global
        .offset:         8
        .size:           8
        .value_kind:     global_buffer
      - .actual_access:  read_only
        .address_space:  global
        .offset:         16
        .size:           8
        .value_kind:     global_buffer
      - .actual_access:  write_only
        .address_space:  global
        .offset:         24
        .size:           8
        .value_kind:     global_buffer
      - .actual_access:  write_only
        .address_space:  global
        .offset:         32
        .size:           8
        .value_kind:     global_buffer
      - .actual_access:  write_only
        .address_space:  global
        .offset:         40
        .size:           8
        .value_kind:     global_buffer
      - .offset:         48
        .size:           4
        .value_kind:     by_value
      - .offset:         52
        .size:           4
        .value_kind:     by_value
      - .offset:         56
        .size:           4
        .value_kind:     by_value
      - .offset:         60
        .size:           4
        .value_kind:     by_value
      - .offset:         64
        .size:           4
        .value_kind:     hidden_block_count_x
      - .offset:         68
        .size:           4
        .value_kind:     hidden_block_count_y
      - .offset:         72
        .size:           4
        .value_kind:     hidden_block_count_z
      - .offset:         76
        .size:           2
        .value_kind:     hidden_group_size_x
      - .offset:         78
        .size:           2
        .value_kind:     hidden_group_size_y
      - .offset:         80
        .size:           2
        .value_kind:     hidden_group_size_z
      - .offset:         82
        .size:           2
        .value_kind:     hidden_remainder_x
      - .offset:         84
        .size:           2
        .value_kind:     hidden_remainder_y
      - .offset:         86
        .size:           2
        .value_kind:     hidden_remainder_z
      - .offset:         104
        .size:           8
        .value_kind:     hidden_global_offset_x
      - .offset:         112
        .size:           8
        .value_kind:     hidden_global_offset_y
      - .offset:         120
        .size:           8
        .value_kind:     hidden_global_offset_z
      - .offset:         128
        .size:           2
        .value_kind:     hidden_grid_dims
    .group_segment_fixed_size: 0
    .kernarg_segment_align: 8
    .kernarg_segment_size: 320
    .language:       OpenCL C
    .language_version:
      - 2
      - 0
    .max_flat_workgroup_size: 1024
    .name:           _Z43applyAccelerationBoundaryConditionsForNodesPKiS0_S0_PdS1_S1_iiii
    .private_segment_fixed_size: 0
    .sgpr_count:     14
    .sgpr_spill_count: 0
    .symbol:         _Z43applyAccelerationBoundaryConditionsForNodesPKiS0_S0_PdS1_S1_iiii.kd
    .uniform_work_group_size: 1
    .uses_dynamic_stack: false
    .vgpr_count:     5
    .vgpr_spill_count: 0
    .wavefront_size: 64
  - .args:
      - .address_space:  global
        .offset:         0
        .size:           8
        .value_kind:     global_buffer
      - .address_space:  global
        .offset:         8
        .size:           8
        .value_kind:     global_buffer
      - .address_space:  global
        .offset:         16
        .size:           8
        .value_kind:     global_buffer
      - .actual_access:  read_only
        .address_space:  global
        .offset:         24
        .size:           8
        .value_kind:     global_buffer
      - .actual_access:  read_only
        .address_space:  global
        .offset:         32
        .size:           8
        .value_kind:     global_buffer
      - .actual_access:  read_only
        .address_space:  global
        .offset:         40
        .size:           8
        .value_kind:     global_buffer
      - .offset:         48
        .size:           8
        .value_kind:     by_value
      - .offset:         56
        .size:           8
        .value_kind:     by_value
      - .offset:         64
        .size:           4
        .value_kind:     by_value
      - .offset:         72
        .size:           4
        .value_kind:     hidden_block_count_x
      - .offset:         76
        .size:           4
        .value_kind:     hidden_block_count_y
      - .offset:         80
        .size:           4
        .value_kind:     hidden_block_count_z
      - .offset:         84
        .size:           2
        .value_kind:     hidden_group_size_x
      - .offset:         86
        .size:           2
        .value_kind:     hidden_group_size_y
      - .offset:         88
        .size:           2
        .value_kind:     hidden_group_size_z
      - .offset:         90
        .size:           2
        .value_kind:     hidden_remainder_x
      - .offset:         92
        .size:           2
        .value_kind:     hidden_remainder_y
      - .offset:         94
        .size:           2
        .value_kind:     hidden_remainder_z
      - .offset:         112
        .size:           8
        .value_kind:     hidden_global_offset_x
      - .offset:         120
        .size:           8
        .value_kind:     hidden_global_offset_y
      - .offset:         128
        .size:           8
        .value_kind:     hidden_global_offset_z
      - .offset:         136
        .size:           2
        .value_kind:     hidden_grid_dims
    .group_segment_fixed_size: 0
    .kernarg_segment_align: 8
    .kernarg_segment_size: 328
    .language:       OpenCL C
    .language_version:
      - 2
      - 0
    .max_flat_workgroup_size: 1024
    .name:           _Z20calcVelocityForNodesPdS_S_PKdS1_S1_ddi
    .private_segment_fixed_size: 0
    .sgpr_count:     28
    .sgpr_spill_count: 0
    .symbol:         _Z20calcVelocityForNodesPdS_S_PKdS1_S1_ddi.kd
    .uniform_work_group_size: 1
    .uses_dynamic_stack: false
    .vgpr_count:     20
    .vgpr_spill_count: 0
    .wavefront_size: 64
  - .args:
      - .address_space:  global
        .offset:         0
        .size:           8
        .value_kind:     global_buffer
      - .address_space:  global
        .offset:         8
        .size:           8
        .value_kind:     global_buffer
      - .address_space:  global
        .offset:         16
        .size:           8
        .value_kind:     global_buffer
      - .actual_access:  read_only
        .address_space:  global
        .offset:         24
        .size:           8
        .value_kind:     global_buffer
      - .actual_access:  read_only
        .address_space:  global
        .offset:         32
        .size:           8
        .value_kind:     global_buffer
      - .actual_access:  read_only
        .address_space:  global
        .offset:         40
        .size:           8
        .value_kind:     global_buffer
      - .offset:         48
        .size:           8
        .value_kind:     by_value
      - .offset:         56
        .size:           4
        .value_kind:     by_value
      - .offset:         64
        .size:           4
        .value_kind:     hidden_block_count_x
      - .offset:         68
        .size:           4
        .value_kind:     hidden_block_count_y
      - .offset:         72
        .size:           4
        .value_kind:     hidden_block_count_z
      - .offset:         76
        .size:           2
        .value_kind:     hidden_group_size_x
      - .offset:         78
        .size:           2
        .value_kind:     hidden_group_size_y
      - .offset:         80
        .size:           2
        .value_kind:     hidden_group_size_z
      - .offset:         82
        .size:           2
        .value_kind:     hidden_remainder_x
      - .offset:         84
        .size:           2
        .value_kind:     hidden_remainder_y
      - .offset:         86
        .size:           2
        .value_kind:     hidden_remainder_z
      - .offset:         104
        .size:           8
        .value_kind:     hidden_global_offset_x
      - .offset:         112
        .size:           8
        .value_kind:     hidden_global_offset_y
      - .offset:         120
        .size:           8
        .value_kind:     hidden_global_offset_z
      - .offset:         128
        .size:           2
        .value_kind:     hidden_grid_dims
    .group_segment_fixed_size: 0
    .kernarg_segment_align: 8
    .kernarg_segment_size: 320
    .language:       OpenCL C
    .language_version:
      - 2
      - 0
    .max_flat_workgroup_size: 1024
    .name:           _Z20calcPositionForNodesPdS_S_PKdS1_S1_di
    .private_segment_fixed_size: 0
    .sgpr_count:     20
    .sgpr_spill_count: 0
    .symbol:         _Z20calcPositionForNodesPdS_S_PKdS1_S1_di.kd
    .uniform_work_group_size: 1
    .uses_dynamic_stack: false
    .vgpr_count:     18
    .vgpr_spill_count: 0
    .wavefront_size: 64
  - .args:
      - .actual_access:  read_only
        .address_space:  global
        .offset:         0
        .size:           8
        .value_kind:     global_buffer
      - .actual_access:  read_only
        .address_space:  global
        .offset:         8
        .size:           8
        .value_kind:     global_buffer
      - .actual_access:  read_only
        .address_space:  global
        .offset:         16
        .size:           8
        .value_kind:     global_buffer
      - .actual_access:  read_only
        .address_space:  global
        .offset:         24
        .size:           8
        .value_kind:     global_buffer
      - .actual_access:  read_only
        .address_space:  global
        .offset:         32
        .size:           8
        .value_kind:     global_buffer
      - .actual_access:  read_only
        .address_space:  global
        .offset:         40
        .size:           8
        .value_kind:     global_buffer
      - .actual_access:  read_only
        .address_space:  global
        .offset:         48
        .size:           8
        .value_kind:     global_buffer
      - .actual_access:  read_only
        .address_space:  global
        .offset:         56
        .size:           8
        .value_kind:     global_buffer
      - .actual_access:  read_only
        .address_space:  global
        .offset:         64
        .size:           8
        .value_kind:     global_buffer
      - .actual_access:  write_only
        .address_space:  global
        .offset:         72
        .size:           8
        .value_kind:     global_buffer
      - .actual_access:  write_only
        .address_space:  global
        .offset:         80
        .size:           8
        .value_kind:     global_buffer
      - .actual_access:  write_only
        .address_space:  global
        .offset:         88
        .size:           8
        .value_kind:     global_buffer
      - .actual_access:  write_only
        .address_space:  global
        .offset:         96
        .size:           8
        .value_kind:     global_buffer
      - .actual_access:  write_only
        .address_space:  global
        .offset:         104
        .size:           8
        .value_kind:     global_buffer
      - .actual_access:  write_only
        .address_space:  global
        .offset:         112
        .size:           8
        .value_kind:     global_buffer
      - .offset:         120
        .size:           8
        .value_kind:     by_value
      - .offset:         128
        .size:           4
        .value_kind:     by_value
      - .offset:         136
        .size:           4
        .value_kind:     hidden_block_count_x
      - .offset:         140
        .size:           4
        .value_kind:     hidden_block_count_y
      - .offset:         144
        .size:           4
        .value_kind:     hidden_block_count_z
      - .offset:         148
        .size:           2
        .value_kind:     hidden_group_size_x
      - .offset:         150
        .size:           2
        .value_kind:     hidden_group_size_y
      - .offset:         152
        .size:           2
        .value_kind:     hidden_group_size_z
      - .offset:         154
        .size:           2
        .value_kind:     hidden_remainder_x
      - .offset:         156
        .size:           2
        .value_kind:     hidden_remainder_y
      - .offset:         158
        .size:           2
        .value_kind:     hidden_remainder_z
      - .offset:         176
        .size:           8
        .value_kind:     hidden_global_offset_x
      - .offset:         184
        .size:           8
        .value_kind:     hidden_global_offset_y
      - .offset:         192
        .size:           8
        .value_kind:     hidden_global_offset_z
      - .offset:         200
        .size:           2
        .value_kind:     hidden_grid_dims
    .group_segment_fixed_size: 0
    .kernarg_segment_align: 8
    .kernarg_segment_size: 392
    .language:       OpenCL C
    .language_version:
      - 2
      - 0
    .max_flat_workgroup_size: 1024
    .name:           _Z22calcKinematicsForElemsPKdS0_S0_S0_S0_S0_PKiS0_S0_PdS3_S3_S3_S3_S3_di
    .private_segment_fixed_size: 412
    .sgpr_count:     32
    .sgpr_spill_count: 0
    .symbol:         _Z22calcKinematicsForElemsPKdS0_S0_S0_S0_S0_PKiS0_S0_PdS3_S3_S3_S3_S3_di.kd
    .uniform_work_group_size: 1
    .uses_dynamic_stack: false
    .vgpr_count:     64
    .vgpr_spill_count: 134
    .wavefront_size: 64
  - .args:
      - .address_space:  global
        .offset:         0
        .size:           8
        .value_kind:     global_buffer
      - .address_space:  global
        .offset:         8
        .size:           8
        .value_kind:     global_buffer
      - .address_space:  global
        .offset:         16
        .size:           8
        .value_kind:     global_buffer
      - .actual_access:  read_only
        .address_space:  global
        .offset:         24
        .size:           8
        .value_kind:     global_buffer
      - .actual_access:  write_only
        .address_space:  global
        .offset:         32
        .size:           8
        .value_kind:     global_buffer
      - .actual_access:  write_only
        .address_space:  global
        .offset:         40
        .size:           8
        .value_kind:     global_buffer
      - .offset:         48
        .size:           4
        .value_kind:     by_value
      - .offset:         56
        .size:           4
        .value_kind:     hidden_block_count_x
      - .offset:         60
        .size:           4
        .value_kind:     hidden_block_count_y
      - .offset:         64
        .size:           4
        .value_kind:     hidden_block_count_z
      - .offset:         68
        .size:           2
        .value_kind:     hidden_group_size_x
      - .offset:         70
        .size:           2
        .value_kind:     hidden_group_size_y
      - .offset:         72
        .size:           2
        .value_kind:     hidden_group_size_z
      - .offset:         74
        .size:           2
        .value_kind:     hidden_remainder_x
      - .offset:         76
        .size:           2
        .value_kind:     hidden_remainder_y
      - .offset:         78
        .size:           2
        .value_kind:     hidden_remainder_z
      - .offset:         96
        .size:           8
        .value_kind:     hidden_global_offset_x
      - .offset:         104
        .size:           8
        .value_kind:     hidden_global_offset_y
      - .offset:         112
        .size:           8
        .value_kind:     hidden_global_offset_z
      - .offset:         120
        .size:           2
        .value_kind:     hidden_grid_dims
    .group_segment_fixed_size: 0
    .kernarg_segment_align: 8
    .kernarg_segment_size: 312
    .language:       OpenCL C
    .language_version:
      - 2
      - 0
    .max_flat_workgroup_size: 1024
    .name:           _Z15calcStrainRatesPdS_S_PKdS_Pii
    .private_segment_fixed_size: 0
    .sgpr_count:     20
    .sgpr_spill_count: 0
    .symbol:         _Z15calcStrainRatesPdS_S_PKdS_Pii.kd
    .uniform_work_group_size: 1
    .uses_dynamic_stack: false
    .vgpr_count:     25
    .vgpr_spill_count: 0
    .wavefront_size: 64
  - .args:
      - .actual_access:  read_only
        .address_space:  global
        .offset:         0
        .size:           8
        .value_kind:     global_buffer
      - .actual_access:  read_only
        .address_space:  global
        .offset:         8
        .size:           8
        .value_kind:     global_buffer
      - .actual_access:  read_only
        .address_space:  global
        .offset:         16
        .size:           8
        .value_kind:     global_buffer
      - .actual_access:  read_only
        .address_space:  global
        .offset:         24
        .size:           8
        .value_kind:     global_buffer
      - .actual_access:  read_only
        .address_space:  global
        .offset:         32
        .size:           8
        .value_kind:     global_buffer
      - .actual_access:  read_only
        .address_space:  global
        .offset:         40
        .size:           8
        .value_kind:     global_buffer
      - .actual_access:  read_only
        .address_space:  global
        .offset:         48
        .size:           8
        .value_kind:     global_buffer
      - .actual_access:  read_only
        .address_space:  global
        .offset:         56
        .size:           8
        .value_kind:     global_buffer
      - .actual_access:  write_only
        .address_space:  global
        .offset:         64
        .size:           8
        .value_kind:     global_buffer
      - .actual_access:  write_only
        .address_space:  global
        .offset:         72
        .size:           8
        .value_kind:     global_buffer
      - .actual_access:  write_only
        .address_space:  global
        .offset:         80
        .size:           8
        .value_kind:     global_buffer
      - .actual_access:  write_only
        .address_space:  global
        .offset:         88
        .size:           8
        .value_kind:     global_buffer
      - .actual_access:  write_only
        .address_space:  global
        .offset:         96
        .size:           8
        .value_kind:     global_buffer
      - .actual_access:  write_only
        .address_space:  global
        .offset:         104
        .size:           8
        .value_kind:     global_buffer
      - .actual_access:  read_only
        .address_space:  global
        .offset:         112
        .size:           8
        .value_kind:     global_buffer
      - .offset:         120
        .size:           4
        .value_kind:     by_value
      - .offset:         128
        .size:           4
        .value_kind:     hidden_block_count_x
      - .offset:         132
        .size:           4
        .value_kind:     hidden_block_count_y
      - .offset:         136
        .size:           4
        .value_kind:     hidden_block_count_z
      - .offset:         140
        .size:           2
        .value_kind:     hidden_group_size_x
      - .offset:         142
        .size:           2
        .value_kind:     hidden_group_size_y
      - .offset:         144
        .size:           2
        .value_kind:     hidden_group_size_z
      - .offset:         146
        .size:           2
        .value_kind:     hidden_remainder_x
      - .offset:         148
        .size:           2
        .value_kind:     hidden_remainder_y
      - .offset:         150
        .size:           2
        .value_kind:     hidden_remainder_z
      - .offset:         168
        .size:           8
        .value_kind:     hidden_global_offset_x
      - .offset:         176
        .size:           8
        .value_kind:     hidden_global_offset_y
      - .offset:         184
        .size:           8
        .value_kind:     hidden_global_offset_z
      - .offset:         192
        .size:           2
        .value_kind:     hidden_grid_dims
    .group_segment_fixed_size: 0
    .kernarg_segment_align: 8
    .kernarg_segment_size: 384
    .language:       OpenCL C
    .language_version:
      - 2
      - 0
    .max_flat_workgroup_size: 1024
    .name:           _Z31calcMonotonicQGradientsForElemsPKdS0_S0_S0_S0_S0_PKiS0_PdS3_S3_S3_S3_S3_S0_i
    .private_segment_fixed_size: 308
    .sgpr_count:     44
    .sgpr_spill_count: 0
    .symbol:         _Z31calcMonotonicQGradientsForElemsPKdS0_S0_S0_S0_S0_PKiS0_PdS3_S3_S3_S3_S3_S0_i.kd
    .uniform_work_group_size: 1
    .uses_dynamic_stack: false
    .vgpr_count:     64
    .vgpr_spill_count: 90
    .wavefront_size: 64
  - .args:
      - .actual_access:  read_only
        .address_space:  global
        .offset:         0
        .size:           8
        .value_kind:     global_buffer
      - .actual_access:  read_only
        .address_space:  global
        .offset:         8
        .size:           8
        .value_kind:     global_buffer
      - .actual_access:  write_only
        .address_space:  global
        .offset:         16
        .size:           8
        .value_kind:     global_buffer
      - .actual_access:  write_only
        .address_space:  global
        .offset:         24
        .size:           8
        .value_kind:     global_buffer
      - .actual_access:  read_only
        .address_space:  global
        .offset:         32
        .size:           8
        .value_kind:     global_buffer
      - .actual_access:  read_only
        .address_space:  global
        .offset:         40
        .size:           8
        .value_kind:     global_buffer
      - .actual_access:  read_only
        .address_space:  global
        .offset:         48
        .size:           8
        .value_kind:     global_buffer
      - .actual_access:  read_only
        .address_space:  global
        .offset:         56
        .size:           8
        .value_kind:     global_buffer
      - .actual_access:  read_only
        .address_space:  global
        .offset:         64
        .size:           8
        .value_kind:     global_buffer
      - .actual_access:  read_only
        .address_space:  global
        .offset:         72
        .size:           8
        .value_kind:     global_buffer
      - .actual_access:  read_only
        .address_space:  global
        .offset:         80
        .size:           8
        .value_kind:     global_buffer
      - .actual_access:  read_only
        .address_space:  global
        .offset:         88
        .size:           8
        .value_kind:     global_buffer
      - .actual_access:  read_only
        .address_space:  global
        .offset:         96
        .size:           8
        .value_kind:     global_buffer
      - .actual_access:  read_only
        .address_space:  global
        .offset:         104
        .size:           8
        .value_kind:     global_buffer
      - .actual_access:  read_only
        .address_space:  global
        .offset:         112
        .size:           8
        .value_kind:     global_buffer
      - .actual_access:  read_only
        .address_space:  global
        .offset:         120
        .size:           8
        .value_kind:     global_buffer
      - .actual_access:  read_only
        .address_space:  global
        .offset:         128
        .size:           8
        .value_kind:     global_buffer
      - .actual_access:  read_only
        .address_space:  global
        .offset:         136
        .size:           8
        .value_kind:     global_buffer
      - .actual_access:  read_only
        .address_space:  global
        .offset:         144
        .size:           8
        .value_kind:     global_buffer
      - .offset:         152
        .size:           8
        .value_kind:     by_value
      - .offset:         160
        .size:           8
        .value_kind:     by_value
      - .offset:         168
        .size:           8
        .value_kind:     by_value
      - .offset:         176
        .size:           8
        .value_kind:     by_value
      - .offset:         184
        .size:           4
        .value_kind:     by_value
      - .offset:         192
        .size:           4
        .value_kind:     hidden_block_count_x
      - .offset:         196
        .size:           4
        .value_kind:     hidden_block_count_y
      - .offset:         200
        .size:           4
        .value_kind:     hidden_block_count_z
      - .offset:         204
        .size:           2
        .value_kind:     hidden_group_size_x
      - .offset:         206
        .size:           2
        .value_kind:     hidden_group_size_y
      - .offset:         208
        .size:           2
        .value_kind:     hidden_group_size_z
      - .offset:         210
        .size:           2
        .value_kind:     hidden_remainder_x
      - .offset:         212
        .size:           2
        .value_kind:     hidden_remainder_y
      - .offset:         214
        .size:           2
        .value_kind:     hidden_remainder_z
      - .offset:         232
        .size:           8
        .value_kind:     hidden_global_offset_x
      - .offset:         240
        .size:           8
        .value_kind:     hidden_global_offset_y
      - .offset:         248
        .size:           8
        .value_kind:     hidden_global_offset_z
      - .offset:         256
        .size:           2
        .value_kind:     hidden_grid_dims
    .group_segment_fixed_size: 0
    .kernarg_segment_align: 8
    .kernarg_segment_size: 448
    .language:       OpenCL C
    .language_version:
      - 2
      - 0
    .max_flat_workgroup_size: 1024
    .name:           _Z22calcMonotonicQForElemsPKiPKdPdS3_S2_S2_S2_S2_S2_S2_S2_S2_S0_S0_S0_S0_S0_S0_S2_ddddi
    .private_segment_fixed_size: 0
    .sgpr_count:     54
    .sgpr_spill_count: 0
    .symbol:         _Z22calcMonotonicQForElemsPKiPKdPdS3_S2_S2_S2_S2_S2_S2_S2_S2_S0_S0_S0_S0_S0_S0_S2_ddddi.kd
    .uniform_work_group_size: 1
    .uses_dynamic_stack: false
    .vgpr_count:     38
    .vgpr_spill_count: 0
    .wavefront_size: 64
  - .args:
      - .actual_access:  read_only
        .address_space:  global
        .offset:         0
        .size:           8
        .value_kind:     global_buffer
      - .actual_access:  read_only
        .address_space:  global
        .offset:         8
        .size:           8
        .value_kind:     global_buffer
      - .actual_access:  read_only
        .address_space:  global
        .offset:         16
        .size:           8
        .value_kind:     global_buffer
      - .actual_access:  read_only
        .address_space:  global
        .offset:         24
        .size:           8
        .value_kind:     global_buffer
      - .actual_access:  read_only
        .address_space:  global
        .offset:         32
        .size:           8
        .value_kind:     global_buffer
      - .address_space:  global
        .offset:         40
        .size:           8
        .value_kind:     global_buffer
      - .address_space:  global
        .offset:         48
        .size:           8
        .value_kind:     global_buffer
      - .address_space:  global
        .offset:         56
        .size:           8
        .value_kind:     global_buffer
      - .actual_access:  write_only
        .address_space:  global
        .offset:         64
        .size:           8
        .value_kind:     global_buffer
      - .actual_access:  write_only
        .address_space:  global
        .offset:         72
        .size:           8
        .value_kind:     global_buffer
      - .address_space:  global
        .offset:         80
        .size:           8
        .value_kind:     global_buffer
      - .offset:         88
        .size:           8
        .value_kind:     by_value
      - .offset:         96
        .size:           8
        .value_kind:     by_value
      - .offset:         104
        .size:           8
        .value_kind:     by_value
      - .offset:         112
        .size:           8
        .value_kind:     by_value
      - .offset:         120
        .size:           8
        .value_kind:     by_value
      - .offset:         128
        .size:           8
        .value_kind:     by_value
      - .offset:         136
        .size:           8
        .value_kind:     by_value
      - .offset:         144
        .size:           8
        .value_kind:     by_value
      - .offset:         152
        .size:           8
        .value_kind:     by_value
      - .offset:         160
        .size:           8
        .value_kind:     by_value
      - .offset:         168
        .size:           4
        .value_kind:     by_value
      - .offset:         176
        .size:           4
        .value_kind:     hidden_block_count_x
      - .offset:         180
        .size:           4
        .value_kind:     hidden_block_count_y
      - .offset:         184
        .size:           4
        .value_kind:     hidden_block_count_z
      - .offset:         188
        .size:           2
        .value_kind:     hidden_group_size_x
      - .offset:         190
        .size:           2
        .value_kind:     hidden_group_size_y
      - .offset:         192
        .size:           2
        .value_kind:     hidden_group_size_z
      - .offset:         194
        .size:           2
        .value_kind:     hidden_remainder_x
      - .offset:         196
        .size:           2
        .value_kind:     hidden_remainder_y
      - .offset:         198
        .size:           2
        .value_kind:     hidden_remainder_z
      - .offset:         216
        .size:           8
        .value_kind:     hidden_global_offset_x
      - .offset:         224
        .size:           8
        .value_kind:     hidden_global_offset_y
      - .offset:         232
        .size:           8
        .value_kind:     hidden_global_offset_z
      - .offset:         240
        .size:           2
        .value_kind:     hidden_grid_dims
    .group_segment_fixed_size: 0
    .kernarg_segment_align: 8
    .kernarg_segment_size: 432
    .language:       OpenCL C
    .language_version:
      - 2
      - 0
    .max_flat_workgroup_size: 1024
    .name:           _Z31applyMaterialPropertiesForElemsPKdS0_S0_PKiS2_PdS3_S3_S3_S3_S3_ddddddddddi
    .private_segment_fixed_size: 0
    .sgpr_count:     36
    .sgpr_spill_count: 0
    .symbol:         _Z31applyMaterialPropertiesForElemsPKdS0_S0_PKiS2_PdS3_S3_S3_S3_S3_ddddddddddi.kd
    .uniform_work_group_size: 1
    .uses_dynamic_stack: false
    .vgpr_count:     51
    .vgpr_spill_count: 0
    .wavefront_size: 64
amdhsa.target:   amdgcn-amd-amdhsa--gfx906
amdhsa.version:
  - 1
  - 2
...

	.end_amdgpu_metadata
